;; amdgpu-corpus repo=ROCm/rocFFT kind=compiled arch=gfx1201 opt=O3
	.text
	.amdgcn_target "amdgcn-amd-amdhsa--gfx1201"
	.amdhsa_code_object_version 6
	.protected	bluestein_single_back_len594_dim1_sp_op_CI_CI ; -- Begin function bluestein_single_back_len594_dim1_sp_op_CI_CI
	.globl	bluestein_single_back_len594_dim1_sp_op_CI_CI
	.p2align	8
	.type	bluestein_single_back_len594_dim1_sp_op_CI_CI,@function
bluestein_single_back_len594_dim1_sp_op_CI_CI: ; @bluestein_single_back_len594_dim1_sp_op_CI_CI
; %bb.0:
	s_load_b128 s[8:11], s[0:1], 0x28
	v_mul_u32_u24_e32 v1, 0x296, v0
	s_mov_b32 s2, exec_lo
	v_mov_b32_e32 v45, 0
	s_delay_alu instid0(VALU_DEP_2) | instskip(NEXT) | instid1(VALU_DEP_1)
	v_lshrrev_b32_e32 v1, 16, v1
	v_add_nc_u32_e32 v44, ttmp9, v1
	s_wait_kmcnt 0x0
	s_delay_alu instid0(VALU_DEP_1)
	v_cmpx_gt_u64_e64 s[8:9], v[44:45]
	s_cbranch_execz .LBB0_15
; %bb.1:
	s_clause 0x1
	s_load_b64 s[12:13], s[0:1], 0x0
	s_load_b64 s[8:9], s[0:1], 0x38
	v_mul_lo_u16 v1, 0x63, v1
	s_delay_alu instid0(VALU_DEP_1) | instskip(NEXT) | instid1(VALU_DEP_1)
	v_sub_nc_u16 v0, v0, v1
	v_and_b32_e32 v49, 0xffff, v0
	v_cmp_gt_u16_e32 vcc_lo, 54, v0
	s_delay_alu instid0(VALU_DEP_2)
	v_lshlrev_b32_e32 v50, 3, v49
	s_and_saveexec_b32 s3, vcc_lo
	s_cbranch_execz .LBB0_3
; %bb.2:
	s_load_b64 s[4:5], s[0:1], 0x18
	s_delay_alu instid0(VALU_DEP_1)
	v_add_nc_u32_e32 v48, 0x800, v50
	s_wait_kmcnt 0x0
	s_load_b128 s[4:7], s[4:5], 0x0
	s_wait_kmcnt 0x0
	v_mad_co_u64_u32 v[0:1], null, s6, v44, 0
	v_mad_co_u64_u32 v[2:3], null, s4, v49, 0
	s_delay_alu instid0(VALU_DEP_1) | instskip(NEXT) | instid1(VALU_DEP_1)
	v_mad_co_u64_u32 v[4:5], null, s7, v44, v[1:2]
	v_mad_co_u64_u32 v[5:6], null, s5, v49, v[3:4]
	v_mov_b32_e32 v1, v4
	s_mul_u64 s[4:5], s[4:5], 0x1b0
	s_delay_alu instid0(VALU_DEP_1) | instskip(NEXT) | instid1(VALU_DEP_3)
	v_lshlrev_b64_e32 v[0:1], 3, v[0:1]
	v_mov_b32_e32 v3, v5
	s_delay_alu instid0(VALU_DEP_1) | instskip(NEXT) | instid1(VALU_DEP_3)
	v_lshlrev_b64_e32 v[2:3], 3, v[2:3]
	v_add_co_u32 v10, s2, s10, v0
	s_delay_alu instid0(VALU_DEP_1)
	v_add_co_ci_u32_e64 v11, s2, s11, v1, s2
	s_clause 0x3
	global_load_b64 v[0:1], v50, s[12:13]
	global_load_b64 v[4:5], v50, s[12:13] offset:432
	global_load_b64 v[6:7], v50, s[12:13] offset:864
	;; [unrolled: 1-line block ×3, first 2 shown]
	v_add_co_u32 v2, s2, v10, v2
	s_wait_alu 0xf1ff
	v_add_co_ci_u32_e64 v3, s2, v11, v3, s2
	s_clause 0x3
	global_load_b64 v[12:13], v50, s[12:13] offset:1728
	global_load_b64 v[14:15], v50, s[12:13] offset:2160
	;; [unrolled: 1-line block ×4, first 2 shown]
	s_wait_alu 0xfffe
	v_add_co_u32 v10, s2, v2, s4
	s_wait_alu 0xf1ff
	v_add_co_ci_u32_e64 v11, s2, s5, v3, s2
	global_load_b64 v[22:23], v50, s[12:13] offset:3456
	v_add_co_u32 v20, s2, v10, s4
	s_wait_alu 0xf1ff
	v_add_co_ci_u32_e64 v21, s2, s5, v11, s2
	s_clause 0x1
	global_load_b64 v[2:3], v[2:3], off
	global_load_b64 v[10:11], v[10:11], off
	v_add_co_u32 v24, s2, v20, s4
	s_wait_alu 0xf1ff
	v_add_co_ci_u32_e64 v25, s2, s5, v21, s2
	s_delay_alu instid0(VALU_DEP_2) | instskip(SKIP_1) | instid1(VALU_DEP_2)
	v_add_co_u32 v26, s2, v24, s4
	s_wait_alu 0xf1ff
	v_add_co_ci_u32_e64 v27, s2, s5, v25, s2
	s_clause 0x1
	global_load_b64 v[20:21], v[20:21], off
	global_load_b64 v[24:25], v[24:25], off
	v_add_co_u32 v28, s2, v26, s4
	s_wait_alu 0xf1ff
	v_add_co_ci_u32_e64 v29, s2, s5, v27, s2
	global_load_b64 v[26:27], v[26:27], off
	v_add_co_u32 v30, s2, v28, s4
	s_wait_alu 0xf1ff
	v_add_co_ci_u32_e64 v31, s2, s5, v29, s2
	;; [unrolled: 4-line block ×6, first 2 shown]
	global_load_b64 v[36:37], v[36:37], off
	s_clause 0x1
	global_load_b64 v[40:41], v50, s[12:13] offset:3888
	global_load_b64 v[42:43], v50, s[12:13] offset:4320
	global_load_b64 v[38:39], v[38:39], off
	v_add_nc_u32_e32 v47, 0x400, v50
	s_wait_loadcnt 0xc
	v_mul_f32_e32 v45, v3, v1
	v_mul_f32_e32 v46, v2, v1
	s_wait_loadcnt 0xb
	v_mul_f32_e32 v1, v11, v5
	s_delay_alu instid0(VALU_DEP_3) | instskip(NEXT) | instid1(VALU_DEP_3)
	v_fmac_f32_e32 v45, v2, v0
	v_fma_f32 v46, v3, v0, -v46
	s_wait_loadcnt 0xa
	s_delay_alu instid0(VALU_DEP_3) | instskip(SKIP_2) | instid1(VALU_DEP_2)
	v_dual_fmac_f32 v1, v10, v4 :: v_dual_mul_f32 v0, v21, v7
	v_mul_f32_e32 v5, v10, v5
	s_wait_loadcnt 0x9
	v_dual_mul_f32 v3, v25, v9 :: v_dual_fmac_f32 v0, v20, v6
	s_delay_alu instid0(VALU_DEP_2) | instskip(SKIP_1) | instid1(VALU_DEP_3)
	v_fma_f32 v2, v11, v4, -v5
	v_mul_f32_e32 v4, v20, v7
	v_fmac_f32_e32 v3, v24, v8
	s_wait_loadcnt 0x8
	v_mul_f32_e32 v5, v27, v13
	ds_store_2addr_b64 v50, v[45:46], v[1:2] offset1:54
	v_mul_f32_e32 v2, v24, v9
	v_fma_f32 v1, v21, v6, -v4
	s_wait_loadcnt 0x7
	v_dual_mul_f32 v6, v26, v13 :: v_dual_mul_f32 v7, v29, v15
	s_wait_loadcnt 0x6
	v_mul_f32_e32 v9, v31, v17
	v_fma_f32 v4, v25, v8, -v2
	v_dual_mul_f32 v2, v28, v15 :: v_dual_fmac_f32 v5, v26, v12
	v_fma_f32 v6, v27, v12, -v6
	s_wait_loadcnt 0x5
	v_mul_f32_e32 v11, v33, v19
	v_mul_f32_e32 v12, v32, v19
	v_fma_f32 v8, v29, v14, -v2
	v_mul_f32_e32 v2, v30, v17
	v_fmac_f32_e32 v9, v30, v16
	s_wait_loadcnt 0x4
	v_mul_f32_e32 v13, v35, v23
	v_fmac_f32_e32 v11, v32, v18
	v_fma_f32 v12, v33, v18, -v12
	v_fma_f32 v10, v31, v16, -v2
	s_wait_loadcnt 0x2
	v_mul_f32_e32 v16, v36, v41
	v_dual_mul_f32 v2, v34, v23 :: v_dual_mul_f32 v15, v37, v41
	s_wait_loadcnt 0x0
	v_mul_f32_e32 v17, v39, v43
	v_dual_mul_f32 v18, v38, v43 :: v_dual_fmac_f32 v7, v28, v14
	v_fmac_f32_e32 v13, v34, v22
	v_fma_f32 v14, v35, v22, -v2
	v_fmac_f32_e32 v15, v36, v40
	v_fma_f32 v16, v37, v40, -v16
	;; [unrolled: 2-line block ×3, first 2 shown]
	ds_store_2addr_b64 v50, v[0:1], v[3:4] offset0:108 offset1:162
	ds_store_2addr_b64 v47, v[5:6], v[7:8] offset0:88 offset1:142
	;; [unrolled: 1-line block ×4, first 2 shown]
	ds_store_b64 v50, v[17:18] offset:4320
.LBB0_3:
	s_or_b32 exec_lo, exec_lo, s3
	s_clause 0x1
	s_load_b64 s[2:3], s[0:1], 0x20
	s_load_b64 s[4:5], s[0:1], 0x8
	v_mov_b32_e32 v16, 0
	v_mov_b32_e32 v17, 0
	global_wb scope:SCOPE_SE
	s_wait_dscnt 0x0
	s_wait_kmcnt 0x0
	s_barrier_signal -1
	s_barrier_wait -1
	global_inv scope:SCOPE_SE
                                        ; implicit-def: $vgpr8
                                        ; implicit-def: $vgpr12
                                        ; implicit-def: $vgpr28
                                        ; implicit-def: $vgpr22
                                        ; implicit-def: $vgpr26
	s_and_saveexec_b32 s0, vcc_lo
	s_cbranch_execz .LBB0_5
; %bb.4:
	v_add_nc_u32_e32 v0, 0x400, v50
	v_add_nc_u32_e32 v1, 0x800, v50
	ds_load_2addr_b64 v[16:19], v50 offset1:54
	ds_load_2addr_b64 v[24:27], v50 offset0:108 offset1:162
	ds_load_2addr_b64 v[20:23], v0 offset0:88 offset1:142
	;; [unrolled: 1-line block ×4, first 2 shown]
	ds_load_b64 v[28:29], v50 offset:4320
.LBB0_5:
	s_wait_alu 0xfffe
	s_or_b32 exec_lo, exec_lo, s0
	s_wait_dscnt 0x0
	v_dual_sub_f32 v1, v19, v29 :: v_dual_sub_f32 v4, v18, v28
	v_dual_add_f32 v65, v28, v18 :: v_dual_add_f32 v66, v29, v19
	v_sub_f32_e32 v86, v24, v14
	s_delay_alu instid0(VALU_DEP_3)
	v_dual_mul_f32 v30, 0xbf0a6770, v1 :: v_dual_mul_f32 v31, 0xbf0a6770, v4
	v_mul_f32_e32 v36, 0xbf68dda4, v4
	v_sub_f32_e32 v52, v25, v15
	v_mul_f32_e32 v48, 0xbf4178ce, v1
	v_mul_f32_e32 v34, 0xbf68dda4, v1
	v_fma_f32 v2, 0x3f575c64, v66, -v31
	v_fma_f32 v5, 0x3ed4b147, v66, -v36
	v_mul_f32_e32 v39, 0xbf4178ce, v52
	global_wb scope:SCOPE_SE
	v_dual_fmamk_f32 v33, v65, 0xbf27a4f4, v48 :: v_dual_add_f32 v2, v2, v17
	v_dual_add_f32 v5, v5, v17 :: v_dual_add_f32 v72, v14, v24
	s_barrier_signal -1
	s_delay_alu instid0(VALU_DEP_2) | instskip(SKIP_1) | instid1(VALU_DEP_3)
	v_dual_add_f32 v42, v33, v16 :: v_dual_mul_f32 v33, 0xbf68dda4, v86
	v_mul_f32_e32 v47, 0x3e903f40, v52
	v_fmamk_f32 v37, v72, 0xbf27a4f4, v39
	v_dual_mul_f32 v54, 0xbf4178ce, v4 :: v_dual_mul_f32 v41, 0xbf4178ce, v86
	v_dual_mul_f32 v90, 0x3f0a6770, v52 :: v_dual_mul_f32 v95, 0x3f0a6770, v86
	s_barrier_wait -1
	s_delay_alu instid0(VALU_DEP_2)
	v_fma_f32 v35, 0xbf27a4f4, v66, -v54
	v_mul_f32_e32 v40, 0xbf7d64f0, v4
	global_inv scope:SCOPE_SE
	v_add_f32_e32 v73, v15, v25
	v_sub_f32_e32 v91, v26, v12
	v_add_f32_e32 v43, v35, v17
	v_fma_f32 v7, 0xbe11bafb, v66, -v40
	v_fmamk_f32 v0, v65, 0x3f575c64, v30
	v_fma_f32 v45, 0xbf27a4f4, v73, -v41
	v_dual_add_f32 v74, v12, v26 :: v_dual_mul_f32 v55, 0x3e903f40, v91
	s_delay_alu instid0(VALU_DEP_4) | instskip(NEXT) | instid1(VALU_DEP_4)
	v_add_f32_e32 v7, v7, v17
	v_dual_fmamk_f32 v3, v65, 0x3ed4b147, v34 :: v_dual_add_f32 v0, v0, v16
	s_delay_alu instid0(VALU_DEP_4) | instskip(NEXT) | instid1(VALU_DEP_2)
	v_dual_add_f32 v5, v45, v5 :: v_dual_mul_f32 v68, 0x3f7d64f0, v86
	v_dual_fmamk_f32 v46, v72, 0xbf75a155, v47 :: v_dual_add_f32 v3, v3, v16
	v_mul_f32_e32 v38, 0xbf7d64f0, v1
	v_sub_f32_e32 v88, v27, v13
	s_delay_alu instid0(VALU_DEP_4) | instskip(NEXT) | instid1(VALU_DEP_4)
	v_fma_f32 v51, 0xbe11bafb, v73, -v68
	v_dual_mul_f32 v58, 0x3e903f40, v86 :: v_dual_add_f32 v3, v37, v3
	s_delay_alu instid0(VALU_DEP_4)
	v_fmamk_f32 v6, v65, 0xbe11bafb, v38
	v_fma_f32 v100, 0x3f575c64, v73, -v95
	v_mul_f32_e32 v93, 0xbf4178ce, v91
	v_add_f32_e32 v77, v51, v43
	v_fma_f32 v45, 0xbf75a155, v73, -v58
	v_mul_f32_e32 v32, 0xbf68dda4, v52
	v_mul_f32_e32 v37, 0xbf7d64f0, v91
	;; [unrolled: 1-line block ×3, first 2 shown]
	v_sub_f32_e32 v92, v21, v11
	v_dual_add_f32 v7, v45, v7 :: v_dual_add_f32 v6, v6, v16
	v_fmamk_f32 v35, v72, 0x3ed4b147, v32
	v_dual_sub_f32 v96, v20, v10 :: v_dual_sub_f32 v97, v23, v9
	v_add_f32_e32 v79, v11, v21
	s_delay_alu instid0(VALU_DEP_3) | instskip(SKIP_2) | instid1(VALU_DEP_2)
	v_dual_add_f32 v81, v8, v22 :: v_dual_add_f32 v0, v35, v0
	v_fma_f32 v35, 0x3ed4b147, v73, -v33
	v_add_f32_e32 v82, v9, v23
	v_dual_add_f32 v2, v35, v2 :: v_dual_mul_f32 v35, 0xbf7d64f0, v88
	s_delay_alu instid0(VALU_DEP_1) | instskip(SKIP_2) | instid1(VALU_DEP_3)
	v_dual_fmamk_f32 v53, v74, 0xbe11bafb, v35 :: v_dual_add_f32 v76, v13, v27
	v_dual_mul_f32 v59, 0x3f68dda4, v88 :: v_dual_add_f32 v6, v46, v6
	v_mul_f32_e32 v51, 0x3e903f40, v88
	v_add_f32_e32 v0, v53, v0
	s_delay_alu instid0(VALU_DEP_4) | instskip(SKIP_3) | instid1(VALU_DEP_4)
	v_fma_f32 v43, 0xbe11bafb, v76, -v37
	v_fma_f32 v53, 0x3ed4b147, v76, -v63
	v_mul_f32_e32 v67, 0xbf0a6770, v88
	v_fma_f32 v45, 0xbf75a155, v76, -v55
	v_dual_add_f32 v2, v43, v2 :: v_dual_fmamk_f32 v43, v74, 0xbf75a155, v51
	s_delay_alu instid0(VALU_DEP_4) | instskip(SKIP_1) | instid1(VALU_DEP_4)
	v_dual_mul_f32 v62, 0x3f7d64f0, v52 :: v_dual_add_f32 v7, v53, v7
	v_mul_f32_e32 v53, 0x3f7d64f0, v92
	v_add_f32_e32 v5, v45, v5
	s_delay_alu instid0(VALU_DEP_3) | instskip(SKIP_2) | instid1(VALU_DEP_3)
	v_dual_add_f32 v3, v43, v3 :: v_dual_fmamk_f32 v46, v72, 0xbe11bafb, v62
	v_fmamk_f32 v43, v74, 0x3f575c64, v67
	v_add_f32_e32 v78, v10, v20
	v_add_f32_e32 v42, v46, v42
	v_fmamk_f32 v46, v74, 0x3ed4b147, v59
	s_delay_alu instid0(VALU_DEP_2) | instskip(NEXT) | instid1(VALU_DEP_1)
	v_dual_fmamk_f32 v56, v78, 0xbe11bafb, v53 :: v_dual_add_f32 v83, v43, v42
	v_dual_mul_f32 v42, 0xbf4178ce, v92 :: v_dual_add_f32 v3, v56, v3
	v_mul_f32_e32 v56, 0xbe903f40, v97
	v_sub_f32_e32 v98, v22, v8
	v_mul_f32_e32 v60, 0x3f0a6770, v97
	s_delay_alu instid0(VALU_DEP_4) | instskip(SKIP_1) | instid1(VALU_DEP_4)
	v_fmamk_f32 v45, v78, 0xbf27a4f4, v42
	v_dual_add_f32 v6, v46, v6 :: v_dual_mul_f32 v43, 0xbf4178ce, v96
	v_mul_f32_e32 v69, 0x3f0a6770, v98
	s_delay_alu instid0(VALU_DEP_2) | instskip(NEXT) | instid1(VALU_DEP_2)
	v_fma_f32 v46, 0xbf27a4f4, v79, -v43
	v_fma_f32 v87, 0x3f575c64, v82, -v69
	v_mul_f32_e32 v64, 0xbf0a6770, v92
	v_add_f32_e32 v0, v45, v0
	s_delay_alu instid0(VALU_DEP_4) | instskip(NEXT) | instid1(VALU_DEP_3)
	v_add_f32_e32 v2, v46, v2
	v_fmamk_f32 v45, v78, 0x3f575c64, v64
	s_delay_alu instid0(VALU_DEP_1) | instskip(NEXT) | instid1(VALU_DEP_1)
	v_dual_mul_f32 v61, 0x3f7d64f0, v96 :: v_dual_add_f32 v6, v45, v6
	v_fma_f32 v57, 0xbe11bafb, v79, -v61
	v_mul_f32_e32 v70, 0xbf0a6770, v91
	v_fmamk_f32 v45, v81, 0xbf75a155, v56
	v_mul_f32_e32 v71, 0xbf4178ce, v97
	v_fma_f32 v91, 0xbf27a4f4, v76, -v93
	v_add_f32_e32 v5, v57, v5
	v_mul_f32_e32 v57, 0xbe903f40, v98
	v_fma_f32 v84, 0x3f575c64, v76, -v70
	v_fmamk_f32 v80, v81, 0x3f575c64, v60
	v_add_f32_e32 v45, v45, v0
	s_delay_alu instid0(VALU_DEP_4) | instskip(NEXT) | instid1(VALU_DEP_1)
	v_fma_f32 v46, 0xbf75a155, v82, -v57
	v_dual_mul_f32 v75, 0xbf0a6770, v96 :: v_dual_add_f32 v46, v46, v2
	s_delay_alu instid0(VALU_DEP_1) | instskip(SKIP_3) | instid1(VALU_DEP_4)
	v_fma_f32 v85, 0x3f575c64, v79, -v75
	v_add_f32_e32 v2, v80, v3
	v_dual_mul_f32 v80, 0xbe903f40, v92 :: v_dual_add_f32 v3, v87, v5
	v_add_f32_e32 v5, v84, v77
	v_dual_add_f32 v7, v85, v7 :: v_dual_fmamk_f32 v86, v72, 0x3f575c64, v90
	v_mul_f32_e32 v94, 0xbe903f40, v4
	v_mul_f32_e32 v84, 0xbe903f40, v96
	s_delay_alu instid0(VALU_DEP_2) | instskip(NEXT) | instid1(VALU_DEP_1)
	v_fma_f32 v52, 0xbf75a155, v66, -v94
	v_dual_fmamk_f32 v87, v78, 0xbf75a155, v80 :: v_dual_add_f32 v52, v52, v17
	s_delay_alu instid0(VALU_DEP_1) | instskip(SKIP_2) | instid1(VALU_DEP_4)
	v_dual_fmamk_f32 v0, v81, 0xbf27a4f4, v71 :: v_dual_add_f32 v99, v87, v83
	v_mul_f32_e32 v87, 0xbe903f40, v1
	v_fma_f32 v89, 0xbf75a155, v79, -v84
	v_dual_mul_f32 v85, 0x3f68dda4, v98 :: v_dual_add_f32 v52, v100, v52
	v_mul_f32_e32 v77, 0xbf4178ce, v98
	s_delay_alu instid0(VALU_DEP_4) | instskip(NEXT) | instid1(VALU_DEP_4)
	v_fmamk_f32 v1, v65, 0xbf75a155, v87
	v_dual_add_f32 v4, v89, v5 :: v_dual_mul_f32 v89, 0xbf4178ce, v88
	v_dual_mul_f32 v83, 0x3f68dda4, v97 :: v_dual_mul_f32 v88, 0x3f68dda4, v92
	v_add_f32_e32 v0, v0, v6
	v_fma_f32 v6, 0xbf27a4f4, v82, -v77
	v_add_f32_e32 v52, v91, v52
	v_add_f32_e32 v1, v1, v16
	v_fmamk_f32 v5, v81, 0x3ed4b147, v83
	v_mul_f32_e32 v91, 0xbf7d64f0, v98
	v_fma_f32 v98, 0x3ed4b147, v82, -v85
	s_delay_alu instid0(VALU_DEP_4) | instskip(SKIP_3) | instid1(VALU_DEP_3)
	v_add_f32_e32 v1, v86, v1
	v_fmamk_f32 v86, v74, 0xbf27a4f4, v89
	v_mul_f32_e32 v92, 0x3f68dda4, v96
	v_fmamk_f32 v96, v78, 0x3ed4b147, v88
	v_add_f32_e32 v1, v86, v1
	v_mul_f32_e32 v86, 0xbf7d64f0, v97
	s_delay_alu instid0(VALU_DEP_4) | instskip(NEXT) | instid1(VALU_DEP_3)
	v_fma_f32 v97, 0x3ed4b147, v79, -v92
	v_add_f32_e32 v96, v96, v1
	s_delay_alu instid0(VALU_DEP_3) | instskip(NEXT) | instid1(VALU_DEP_3)
	v_fmamk_f32 v100, v81, 0xbe11bafb, v86
	v_add_f32_e32 v52, v97, v52
	v_fma_f32 v97, 0xbe11bafb, v82, -v91
	v_add_f32_e32 v1, v6, v7
	v_dual_add_f32 v7, v98, v4 :: v_dual_add_f32 v6, v5, v99
	v_add_f32_e32 v4, v100, v96
	s_delay_alu instid0(VALU_DEP_4)
	v_add_f32_e32 v5, v97, v52
	v_mul_lo_u16 v52, v49, 11
	s_and_saveexec_b32 s0, vcc_lo
	s_cbranch_execz .LBB0_7
; %bb.6:
	v_add_f32_e32 v18, v18, v16
	v_dual_mul_f32 v96, 0x3f575c64, v65 :: v_dual_mul_f32 v97, 0x3f575c64, v66
	v_dual_mul_f32 v98, 0x3ed4b147, v65 :: v_dual_mul_f32 v99, 0x3ed4b147, v66
	s_delay_alu instid0(VALU_DEP_3) | instskip(SKIP_3) | instid1(VALU_DEP_4)
	v_add_f32_e32 v24, v24, v18
	v_dual_mul_f32 v100, 0xbe11bafb, v65 :: v_dual_mul_f32 v101, 0xbe11bafb, v66
	v_dual_mul_f32 v102, 0xbf27a4f4, v65 :: v_dual_mul_f32 v103, 0xbf27a4f4, v66
	;; [unrolled: 1-line block ×3, first 2 shown]
	v_add_f32_e32 v24, v26, v24
	v_dual_mul_f32 v104, 0x3ed4b147, v72 :: v_dual_mul_f32 v105, 0x3ed4b147, v73
	v_dual_mul_f32 v106, 0xbf27a4f4, v72 :: v_dual_mul_f32 v107, 0xbf27a4f4, v73
	;; [unrolled: 1-line block ×5, first 2 shown]
	v_add_f32_e32 v66, v94, v66
	v_dual_mul_f32 v94, 0xbf75a155, v76 :: v_dual_sub_f32 v65, v65, v87
	v_add_f32_e32 v20, v20, v24
	v_dual_mul_f32 v112, 0xbe11bafb, v74 :: v_dual_mul_f32 v113, 0xbe11bafb, v76
	v_dual_mul_f32 v114, 0xbf75a155, v74 :: v_dual_add_f32 v73, v95, v73
	v_dual_mul_f32 v115, 0x3ed4b147, v74 :: v_dual_mul_f32 v116, 0x3ed4b147, v76
	v_mul_f32_e32 v95, 0x3f575c64, v76
	v_dual_mul_f32 v117, 0x3f575c64, v74 :: v_dual_add_f32 v66, v66, v17
	v_mul_f32_e32 v74, 0xbf27a4f4, v74
	v_dual_mul_f32 v118, 0xbf27a4f4, v78 :: v_dual_add_f32 v65, v65, v16
	v_sub_f32_e32 v72, v72, v90
	v_mul_f32_e32 v76, 0xbf27a4f4, v76
	v_add_f32_e32 v20, v22, v20
	v_dual_add_f32 v66, v73, v66 :: v_dual_mul_f32 v73, 0xbf27a4f4, v79
	s_delay_alu instid0(VALU_DEP_4) | instskip(NEXT) | instid1(VALU_DEP_4)
	v_dual_mul_f32 v90, 0xbe11bafb, v79 :: v_dual_add_f32 v65, v72, v65
	v_dual_mul_f32 v87, 0xbe11bafb, v78 :: v_dual_add_f32 v76, v93, v76
	v_dual_mul_f32 v93, 0x3ed4b147, v79 :: v_dual_sub_f32 v74, v74, v89
	v_mul_f32_e32 v89, 0xbe11bafb, v82
	v_sub_f32_e32 v38, v100, v38
	v_add_f32_e32 v36, v36, v99
	v_add_f32_e32 v8, v8, v20
	v_add_f32_e32 v66, v76, v66
	v_dual_mul_f32 v76, 0x3f575c64, v78 :: v_dual_add_f32 v89, v91, v89
	v_dual_add_f32 v92, v92, v93 :: v_dual_mul_f32 v91, 0xbf75a155, v82
	v_add_f32_e32 v54, v54, v103
	v_dual_add_f32 v68, v68, v111 :: v_dual_mul_f32 v111, 0xbf27a4f4, v82
	v_dual_mul_f32 v72, 0xbf75a155, v78 :: v_dual_add_f32 v65, v74, v65
	v_dual_mul_f32 v74, 0x3f575c64, v81 :: v_dual_sub_f32 v47, v108, v47
	v_dual_sub_f32 v48, v102, v48 :: v_dual_add_f32 v41, v41, v107
	v_add_f32_e32 v38, v38, v16
	v_add_f32_e32 v36, v36, v17
	v_add_f32_e32 v8, v10, v8
	v_dual_mul_f32 v78, 0x3ed4b147, v78 :: v_dual_add_f32 v63, v63, v116
	v_mul_f32_e32 v102, 0x3ed4b147, v81
	v_sub_f32_e32 v34, v98, v34
	v_sub_f32_e32 v26, v74, v60
	v_dual_add_f32 v36, v41, v36 :: v_dual_add_f32 v41, v55, v94
	v_add_f32_e32 v54, v54, v17
	v_add_f32_e32 v8, v12, v8
	;; [unrolled: 1-line block ×4, first 2 shown]
	v_sub_f32_e32 v47, v115, v59
	v_mul_f32_e32 v93, 0x3f575c64, v79
	v_dual_mul_f32 v79, 0xbf75a155, v79 :: v_dual_add_f32 v66, v92, v66
	v_dual_mul_f32 v103, 0xbf27a4f4, v81 :: v_dual_sub_f32 v78, v78, v88
	v_mul_f32_e32 v88, 0x3f575c64, v82
	v_dual_mul_f32 v82, 0x3ed4b147, v82 :: v_dual_sub_f32 v39, v106, v39
	v_dual_add_f32 v48, v48, v16 :: v_dual_add_f32 v19, v19, v17
	v_dual_add_f32 v38, v47, v38 :: v_dual_sub_f32 v47, v76, v64
	v_add_f32_e32 v54, v68, v54
	v_add_f32_e32 v68, v70, v95
	;; [unrolled: 1-line block ×7, first 2 shown]
	v_dual_sub_f32 v47, v103, v71 :: v_dual_add_f32 v40, v40, v101
	v_dual_add_f32 v34, v39, v34 :: v_dual_sub_f32 v39, v114, v51
	v_dual_add_f32 v54, v68, v54 :: v_dual_add_f32 v19, v25, v19
	v_mul_f32_e32 v92, 0xbf75a155, v81
	v_mul_f32_e32 v81, 0xbe11bafb, v81
	v_add_f32_e32 v65, v78, v65
	v_sub_f32_e32 v62, v110, v62
	v_dual_add_f32 v47, v47, v38 :: v_dual_add_f32 v40, v40, v17
	s_delay_alu instid0(VALU_DEP_4) | instskip(SKIP_3) | instid1(VALU_DEP_4)
	v_dual_add_f32 v19, v27, v19 :: v_dual_sub_f32 v70, v81, v86
	v_add_f32_e32 v58, v58, v109
	v_add_f32_e32 v36, v41, v36
	;; [unrolled: 1-line block ×3, first 2 shown]
	v_dual_add_f32 v19, v21, v19 :: v_dual_add_f32 v48, v62, v48
	v_dual_add_f32 v31, v31, v97 :: v_dual_sub_f32 v62, v117, v67
	v_sub_f32_e32 v27, v96, v30
	v_add_f32_e32 v34, v39, v34
	v_dual_sub_f32 v39, v87, v53 :: v_dual_add_f32 v68, v84, v79
	s_delay_alu instid0(VALU_DEP_4) | instskip(SKIP_2) | instid1(VALU_DEP_4)
	v_dual_add_f32 v67, v85, v82 :: v_dual_add_f32 v48, v62, v48
	v_dual_add_f32 v21, v33, v105 :: v_dual_sub_f32 v62, v72, v80
	v_add_f32_e32 v19, v23, v19
	v_add_f32_e32 v25, v39, v34
	v_dual_add_f32 v54, v68, v54 :: v_dual_add_f32 v17, v31, v17
	v_add_f32_e32 v58, v58, v40
	v_add_f32_e32 v16, v27, v16
	v_sub_f32_e32 v24, v104, v32
	s_delay_alu instid0(VALU_DEP_4) | instskip(SKIP_4) | instid1(VALU_DEP_4)
	v_add_f32_e32 v40, v67, v54
	v_dual_add_f32 v54, v62, v48 :: v_dual_add_f32 v9, v9, v19
	v_dual_sub_f32 v62, v102, v83 :: v_dual_add_f32 v17, v21, v17
	v_dual_add_f32 v48, v63, v58 :: v_dual_sub_f32 v19, v112, v35
	v_dual_add_f32 v21, v37, v113 :: v_dual_add_f32 v16, v24, v16
	v_add_f32_e32 v9, v11, v9
	v_dual_add_f32 v58, v75, v93 :: v_dual_sub_f32 v11, v118, v42
	s_delay_alu instid0(VALU_DEP_3) | instskip(SKIP_1) | instid1(VALU_DEP_4)
	v_add_f32_e32 v17, v21, v17
	v_add_f32_e32 v20, v43, v73
	v_dual_add_f32 v10, v19, v16 :: v_dual_add_f32 v9, v13, v9
	v_add_f32_e32 v14, v14, v8
	v_add_f32_e32 v18, v41, v36
	s_delay_alu instid0(VALU_DEP_4) | instskip(NEXT) | instid1(VALU_DEP_4)
	v_add_f32_e32 v16, v20, v17
	v_dual_add_f32 v10, v11, v10 :: v_dual_sub_f32 v11, v92, v56
	v_dual_add_f32 v13, v15, v9 :: v_dual_add_f32 v48, v58, v48
	v_dual_add_f32 v58, v77, v111 :: v_dual_and_b32 v15, 0xffff, v52
	s_delay_alu instid0(VALU_DEP_3) | instskip(NEXT) | instid1(VALU_DEP_3)
	v_dual_add_f32 v9, v12, v16 :: v_dual_add_f32 v8, v11, v10
	v_dual_add_f32 v11, v29, v13 :: v_dual_add_f32 v10, v28, v14
	s_delay_alu instid0(VALU_DEP_3) | instskip(NEXT) | instid1(VALU_DEP_4)
	v_lshlrev_b32_e32 v12, 3, v15
	v_add_f32_e32 v48, v58, v48
	v_add_f32_e32 v17, v26, v25
	;; [unrolled: 1-line block ×4, first 2 shown]
	ds_store_2addr_b64 v12, v[10:11], v[8:9] offset1:1
	ds_store_2addr_b64 v12, v[17:18], v[47:48] offset0:2 offset1:3
	ds_store_2addr_b64 v12, v[39:40], v[65:66] offset0:4 offset1:5
	;; [unrolled: 1-line block ×4, first 2 shown]
	ds_store_b64 v12, v[45:46] offset:80
.LBB0_7:
	s_wait_alu 0xfffe
	s_or_b32 exec_lo, exec_lo, s0
	v_and_b32_e32 v17, 0xffff, v49
	v_add_co_u32 v36, null, 0x63, v49
	s_load_b128 s[0:3], s[2:3], 0x0
	global_wb scope:SCOPE_SE
	s_wait_dscnt 0x0
	v_lshlrev_b32_e32 v51, 3, v17
	s_wait_kmcnt 0x0
	s_barrier_signal -1
	s_barrier_wait -1
	global_inv scope:SCOPE_SE
	v_and_b32_e32 v9, 0xff, v36
	v_add_nc_u32_e32 v57, 0x800, v51
	s_delay_alu instid0(VALU_DEP_2) | instskip(SKIP_3) | instid1(VALU_DEP_2)
	v_mul_lo_u16 v9, 0x75, v9
	ds_load_2addr_b64 v[20:23], v57 offset0:140 offset1:239
	v_and_b32_e32 v16, 0xff, v49
	v_lshrrev_b16 v9, 8, v9
	v_mul_lo_u16 v8, 0x75, v16
	s_delay_alu instid0(VALU_DEP_2) | instskip(NEXT) | instid1(VALU_DEP_2)
	v_sub_nc_u16 v11, v36, v9
	v_lshrrev_b16 v8, 8, v8
	s_delay_alu instid0(VALU_DEP_2) | instskip(NEXT) | instid1(VALU_DEP_2)
	v_lshrrev_b16 v11, 1, v11
	v_sub_nc_u16 v10, v49, v8
	s_delay_alu instid0(VALU_DEP_1) | instskip(NEXT) | instid1(VALU_DEP_1)
	v_lshrrev_b16 v10, 1, v10
	v_and_b32_e32 v10, 0x7f, v10
	s_delay_alu instid0(VALU_DEP_1) | instskip(SKIP_1) | instid1(VALU_DEP_2)
	v_add_nc_u16 v8, v10, v8
	v_and_b32_e32 v10, 0x7f, v11
	v_lshrrev_b16 v24, 3, v8
	s_delay_alu instid0(VALU_DEP_2) | instskip(NEXT) | instid1(VALU_DEP_2)
	v_add_nc_u16 v8, v10, v9
	v_mul_lo_u16 v9, v24, 11
	s_delay_alu instid0(VALU_DEP_2) | instskip(NEXT) | instid1(VALU_DEP_2)
	v_lshrrev_b16 v25, 3, v8
	v_sub_nc_u16 v8, v49, v9
	s_delay_alu instid0(VALU_DEP_2) | instskip(NEXT) | instid1(VALU_DEP_2)
	v_mul_lo_u16 v9, v25, 11
	v_and_b32_e32 v30, 0xff, v8
	s_delay_alu instid0(VALU_DEP_2) | instskip(SKIP_1) | instid1(VALU_DEP_3)
	v_sub_nc_u16 v8, v36, v9
	v_lshlrev_b32_e32 v36, 4, v36
	v_lshlrev_b32_e32 v9, 4, v30
	s_delay_alu instid0(VALU_DEP_3) | instskip(SKIP_4) | instid1(VALU_DEP_1)
	v_and_b32_e32 v31, 0xff, v8
	global_load_b128 v[12:15], v9, s[4:5]
	v_lshlrev_b32_e32 v8, 4, v31
	global_load_b128 v[8:11], v8, s[4:5]
	v_and_b32_e32 v25, 0xffff, v25
	v_mul_u32_u24_e32 v33, 33, v25
	s_delay_alu instid0(VALU_DEP_1) | instskip(SKIP_4) | instid1(VALU_DEP_2)
	v_add_lshl_u32 v53, v33, v31, 3
	s_wait_loadcnt_dscnt 0x100
	v_mul_f32_e32 v33, v20, v15
	v_mul_lo_u16 v16, 0xf9, v16
	s_wait_loadcnt 0x0
	v_dual_fmac_f32 v33, v21, v14 :: v_dual_mul_f32 v34, v22, v11
	v_add_nc_u32_e32 v56, 0x400, v51
	s_delay_alu instid0(VALU_DEP_3) | instskip(SKIP_2) | instid1(VALU_DEP_1)
	v_lshrrev_b16 v37, 13, v16
	ds_load_2addr_b64 v[16:19], v56 offset0:70 offset1:169
	v_mul_lo_u16 v26, v37, 33
	v_sub_nc_u16 v26, v49, v26
	s_wait_dscnt 0x0
	v_mul_f32_e32 v31, v16, v13
	s_delay_alu instid0(VALU_DEP_1) | instskip(SKIP_2) | instid1(VALU_DEP_2)
	v_fmac_f32_e32 v31, v17, v12
	v_and_b32_e32 v24, 0xffff, v24
	v_and_b32_e32 v38, 0xff, v26
	v_mul_u32_u24_e32 v32, 33, v24
	ds_load_2addr_b64 v[24:27], v51 offset1:99
	global_wb scope:SCOPE_SE
	s_wait_dscnt 0x0
	s_barrier_signal -1
	s_barrier_wait -1
	v_add_lshl_u32 v54, v32, v30, 3
	v_mul_f32_e32 v30, v17, v13
	v_dual_mul_f32 v32, v21, v15 :: v_dual_sub_f32 v21, v31, v33
	global_inv scope:SCOPE_SE
	v_fma_f32 v16, v16, v12, -v30
	v_fma_f32 v17, v20, v14, -v32
	v_mul_f32_e32 v20, v19, v9
	v_mul_f32_e32 v30, v18, v9
	;; [unrolled: 1-line block ×3, first 2 shown]
	s_delay_alu instid0(VALU_DEP_3) | instskip(NEXT) | instid1(VALU_DEP_3)
	v_fma_f32 v20, v18, v8, -v20
	v_fmac_f32_e32 v30, v19, v8
	s_delay_alu instid0(VALU_DEP_3)
	v_fma_f32 v22, v22, v10, -v32
	v_dual_fmac_f32 v34, v23, v10 :: v_dual_add_f32 v19, v16, v17
	v_dual_add_f32 v23, v25, v31 :: v_dual_add_f32 v18, v24, v16
	v_add_f32_e32 v31, v31, v33
	v_sub_f32_e32 v32, v16, v17
	v_mad_co_u64_u32 v[28:29], null, v38, 40, s[4:5]
	s_delay_alu instid0(VALU_DEP_4)
	v_add_f32_e32 v16, v18, v17
	v_fma_f32 v18, -0.5, v19, v24
	v_add_f32_e32 v17, v23, v33
	v_fma_f32 v19, -0.5, v31, v25
	v_add_f32_e32 v31, v27, v30
	v_add_f32_e32 v23, v26, v20
	v_sub_f32_e32 v25, v30, v34
	v_add_f32_e32 v24, v20, v22
	v_add_f32_e32 v30, v30, v34
	v_dual_sub_f32 v33, v20, v22 :: v_dual_fmamk_f32 v20, v21, 0x3f5db3d7, v18
	v_dual_fmac_f32 v18, 0xbf5db3d7, v21 :: v_dual_fmamk_f32 v21, v32, 0xbf5db3d7, v19
	s_delay_alu instid0(VALU_DEP_3) | instskip(SKIP_3) | instid1(VALU_DEP_2)
	v_fmac_f32_e32 v27, -0.5, v30
	v_fmac_f32_e32 v19, 0x3f5db3d7, v32
	v_fma_f32 v26, -0.5, v24, v26
	v_add_f32_e32 v22, v23, v22
	v_dual_add_f32 v23, v31, v34 :: v_dual_fmamk_f32 v24, v25, 0x3f5db3d7, v26
	v_dual_fmac_f32 v26, 0xbf5db3d7, v25 :: v_dual_fmamk_f32 v25, v33, 0xbf5db3d7, v27
	v_fmac_f32_e32 v27, 0x3f5db3d7, v33
	ds_store_2addr_b64 v54, v[16:17], v[20:21] offset1:11
	ds_store_b64 v54, v[18:19] offset:176
	ds_store_2addr_b64 v53, v[22:23], v[24:25] offset1:11
	ds_store_b64 v53, v[26:27] offset:176
	global_wb scope:SCOPE_SE
	s_wait_dscnt 0x0
	s_barrier_signal -1
	s_barrier_wait -1
	global_inv scope:SCOPE_SE
	s_clause 0x2
	global_load_b128 v[20:23], v[28:29], off offset:176
	global_load_b128 v[16:19], v[28:29], off offset:192
	global_load_b64 v[47:48], v[28:29], off offset:208
	ds_load_2addr_b64 v[24:27], v51 offset1:99
	ds_load_2addr_b64 v[28:31], v56 offset0:70 offset1:169
	ds_load_2addr_b64 v[32:35], v57 offset0:140 offset1:239
	v_and_b32_e32 v37, 0xffff, v37
	v_lshlrev_b32_e32 v39, 4, v49
	global_wb scope:SCOPE_SE
	s_wait_loadcnt_dscnt 0x0
	s_barrier_signal -1
	s_barrier_wait -1
	global_inv scope:SCOPE_SE
	v_mul_f32_e32 v40, v29, v23
	v_mul_f32_e32 v58, v33, v19
	v_mul_u32_u24_e32 v37, 0xc6, v37
	v_dual_mul_f32 v41, v28, v23 :: v_dual_mul_f32 v42, v31, v17
	v_mul_f32_e32 v61, v34, v48
	v_dual_mul_f32 v43, v30, v17 :: v_dual_mul_f32 v60, v35, v48
	s_delay_alu instid0(VALU_DEP_4) | instskip(SKIP_4) | instid1(VALU_DEP_4)
	v_add_lshl_u32 v55, v37, v38, 3
	v_mul_f32_e32 v37, v27, v21
	v_dual_mul_f32 v38, v26, v21 :: v_dual_mul_f32 v59, v32, v19
	v_fmac_f32_e32 v41, v29, v22
	v_fma_f32 v29, v34, v47, -v60
	v_fma_f32 v37, v26, v20, -v37
	;; [unrolled: 1-line block ×4, first 2 shown]
	v_fmac_f32_e32 v38, v27, v20
	v_fma_f32 v27, v30, v16, -v42
	v_fmac_f32_e32 v59, v33, v18
	v_dual_fmac_f32 v43, v31, v16 :: v_dual_add_f32 v30, v24, v26
	v_fmac_f32_e32 v61, v35, v47
	v_add_f32_e32 v31, v26, v28
	v_sub_f32_e32 v26, v26, v28
	v_add_f32_e32 v34, v41, v59
	v_sub_f32_e32 v32, v41, v59
	v_dual_add_f32 v33, v25, v41 :: v_dual_add_f32 v42, v38, v43
	v_dual_add_f32 v28, v30, v28 :: v_dual_sub_f32 v41, v43, v61
	v_fma_f32 v58, -0.5, v31, v24
	s_delay_alu instid0(VALU_DEP_3) | instskip(SKIP_1) | instid1(VALU_DEP_3)
	v_dual_add_f32 v30, v33, v59 :: v_dual_add_f32 v43, v43, v61
	v_dual_add_f32 v35, v37, v27 :: v_dual_add_f32 v40, v27, v29
	v_fmamk_f32 v33, v32, 0x3f5db3d7, v58
	v_dual_fmac_f32 v58, 0xbf5db3d7, v32 :: v_dual_sub_f32 v27, v27, v29
	s_delay_alu instid0(VALU_DEP_3) | instskip(SKIP_1) | instid1(VALU_DEP_2)
	v_dual_fmac_f32 v38, -0.5, v43 :: v_dual_fmac_f32 v37, -0.5, v40
	v_fma_f32 v59, -0.5, v34, v25
	v_dual_add_f32 v31, v42, v61 :: v_dual_fmamk_f32 v34, v27, 0xbf5db3d7, v38
	v_dual_fmac_f32 v38, 0x3f5db3d7, v27 :: v_dual_add_f32 v29, v35, v29
	s_delay_alu instid0(VALU_DEP_4) | instskip(SKIP_1) | instid1(VALU_DEP_4)
	v_fmamk_f32 v32, v41, 0x3f5db3d7, v37
	v_fmac_f32_e32 v37, 0xbf5db3d7, v41
	v_dual_mul_f32 v40, 0x3f5db3d7, v34 :: v_dual_add_f32 v25, v30, v31
	s_delay_alu instid0(VALU_DEP_4) | instskip(NEXT) | instid1(VALU_DEP_3)
	v_dual_fmamk_f32 v35, v26, 0xbf5db3d7, v59 :: v_dual_add_f32 v24, v28, v29
	v_dual_mul_f32 v42, 0xbf5db3d7, v32 :: v_dual_mul_f32 v41, -0.5, v37
	s_delay_alu instid0(VALU_DEP_3) | instskip(SKIP_1) | instid1(VALU_DEP_3)
	v_dual_fmac_f32 v40, 0.5, v32 :: v_dual_mul_f32 v43, -0.5, v38
	v_dual_fmac_f32 v59, 0x3f5db3d7, v26 :: v_dual_sub_f32 v26, v28, v29
	v_fmac_f32_e32 v42, 0.5, v34
	s_delay_alu instid0(VALU_DEP_3) | instskip(NEXT) | instid1(VALU_DEP_4)
	v_dual_fmac_f32 v41, 0x3f5db3d7, v38 :: v_dual_sub_f32 v32, v33, v40
	v_dual_add_f32 v28, v33, v40 :: v_dual_fmac_f32 v43, 0xbf5db3d7, v37
	v_sub_f32_e32 v27, v30, v31
	s_delay_alu instid0(VALU_DEP_3) | instskip(NEXT) | instid1(VALU_DEP_3)
	v_dual_add_f32 v30, v58, v41 :: v_dual_add_f32 v29, v35, v42
	v_dual_sub_f32 v34, v58, v41 :: v_dual_add_f32 v31, v59, v43
	v_sub_f32_e32 v33, v35, v42
	v_sub_f32_e32 v35, v59, v43
	ds_store_2addr_b64 v55, v[24:25], v[28:29] offset1:33
	ds_store_2addr_b64 v55, v[30:31], v[26:27] offset0:66 offset1:99
	ds_store_2addr_b64 v55, v[32:33], v[34:35] offset0:132 offset1:165
	global_wb scope:SCOPE_SE
	s_wait_dscnt 0x0
	s_barrier_signal -1
	s_barrier_wait -1
	global_inv scope:SCOPE_SE
	s_clause 0x1
	global_load_b128 v[28:31], v39, s[4:5] offset:1496
	global_load_b128 v[24:27], v36, s[4:5] offset:1496
	ds_load_2addr_b64 v[32:35], v56 offset0:70 offset1:169
	ds_load_2addr_b64 v[40:43], v57 offset0:140 offset1:239
	ds_load_2addr_b64 v[36:39], v51 offset1:99
	s_wait_loadcnt_dscnt 0x102
	v_mul_f32_e32 v58, v33, v29
	s_wait_loadcnt_dscnt 0x1
	v_dual_mul_f32 v59, v32, v29 :: v_dual_mul_f32 v64, v43, v27
	v_mul_f32_e32 v60, v41, v31
	v_dual_mul_f32 v61, v40, v31 :: v_dual_mul_f32 v62, v35, v25
	v_fma_f32 v32, v32, v28, -v58
	s_delay_alu instid0(VALU_DEP_4)
	v_fmac_f32_e32 v59, v33, v28
	v_mul_f32_e32 v63, v34, v25
	v_fma_f32 v33, v40, v30, -v60
	v_fma_f32 v34, v34, v24, -v62
	s_wait_dscnt 0x0
	v_add_f32_e32 v40, v36, v32
	v_fmac_f32_e32 v63, v35, v24
	v_fma_f32 v35, v42, v26, -v64
	v_fmac_f32_e32 v61, v41, v30
	v_dual_add_f32 v41, v32, v33 :: v_dual_add_f32 v60, v38, v34
	s_delay_alu instid0(VALU_DEP_3) | instskip(NEXT) | instid1(VALU_DEP_3)
	v_add_f32_e32 v62, v34, v35
	v_dual_mul_f32 v65, v42, v27 :: v_dual_sub_f32 v58, v59, v61
	v_add_f32_e32 v42, v37, v59
	s_delay_alu instid0(VALU_DEP_3) | instskip(NEXT) | instid1(VALU_DEP_3)
	v_fma_f32 v38, -0.5, v62, v38
	v_fmac_f32_e32 v65, v43, v26
	s_delay_alu instid0(VALU_DEP_1)
	v_sub_f32_e32 v64, v63, v65
	v_add_f32_e32 v43, v59, v61
	v_sub_f32_e32 v59, v32, v33
	v_add_f32_e32 v32, v40, v33
	v_add_f32_e32 v66, v39, v63
	v_fma_f32 v40, -0.5, v41, v36
	v_dual_add_f32 v33, v42, v61 :: v_dual_add_f32 v42, v60, v35
	v_dual_add_f32 v63, v63, v65 :: v_dual_fmamk_f32 v36, v64, 0x3f5db3d7, v38
	v_dual_sub_f32 v67, v34, v35 :: v_dual_fmac_f32 v38, 0xbf5db3d7, v64
	s_delay_alu instid0(VALU_DEP_4) | instskip(SKIP_1) | instid1(VALU_DEP_4)
	v_fmamk_f32 v34, v58, 0x3f5db3d7, v40
	v_fma_f32 v41, -0.5, v43, v37
	v_fmac_f32_e32 v39, -0.5, v63
	v_dual_add_f32 v43, v66, v65 :: v_dual_fmac_f32 v40, 0xbf5db3d7, v58
	s_delay_alu instid0(VALU_DEP_3) | instskip(SKIP_1) | instid1(VALU_DEP_4)
	v_fmamk_f32 v35, v59, 0xbf5db3d7, v41
	v_fmac_f32_e32 v41, 0x3f5db3d7, v59
	v_fmamk_f32 v37, v67, 0xbf5db3d7, v39
	v_fmac_f32_e32 v39, 0x3f5db3d7, v67
	ds_store_2addr_b64 v51, v[32:33], v[42:43] offset1:99
	ds_store_2addr_b64 v56, v[34:35], v[36:37] offset0:70 offset1:169
	ds_store_2addr_b64 v57, v[40:41], v[38:39] offset0:140 offset1:239
	global_wb scope:SCOPE_SE
	s_wait_dscnt 0x0
	s_barrier_signal -1
	s_barrier_wait -1
	global_inv scope:SCOPE_SE
	s_and_saveexec_b32 s4, vcc_lo
	s_cbranch_execz .LBB0_9
; %bb.8:
	global_load_b64 v[56:57], v50, s[12:13] offset:4752
	s_add_nc_u64 s[6:7], s[12:13], 0x1290
	s_clause 0x9
	global_load_b64 v[76:77], v50, s[6:7] offset:432
	global_load_b64 v[78:79], v50, s[6:7] offset:864
	;; [unrolled: 1-line block ×10, first 2 shown]
	ds_load_b64 v[58:59], v51
	v_add_nc_u32_e32 v97, 0x800, v50
	v_add_nc_u32_e32 v98, 0xc00, v50
	s_wait_loadcnt_dscnt 0xa00
	v_mul_f32_e32 v60, v59, v57
	v_mul_f32_e32 v61, v58, v57
	s_delay_alu instid0(VALU_DEP_2) | instskip(NEXT) | instid1(VALU_DEP_2)
	v_fma_f32 v60, v58, v56, -v60
	v_fmac_f32_e32 v61, v59, v56
	ds_store_b64 v51, v[60:61]
	ds_load_2addr_b64 v[56:59], v50 offset0:54 offset1:108
	ds_load_2addr_b64 v[60:63], v50 offset0:162 offset1:216
	;; [unrolled: 1-line block ×5, first 2 shown]
	s_wait_loadcnt_dscnt 0x904
	v_mul_f32_e32 v96, v56, v77
	s_wait_loadcnt 0x8
	v_dual_mul_f32 v99, v57, v77 :: v_dual_mul_f32 v100, v59, v79
	v_mul_f32_e32 v77, v58, v79
	s_wait_loadcnt_dscnt 0x603
	v_dual_mul_f32 v101, v61, v81 :: v_dual_mul_f32 v102, v63, v83
	s_wait_loadcnt_dscnt 0x402
	v_dual_mul_f32 v79, v60, v81 :: v_dual_mul_f32 v104, v67, v87
	v_mul_f32_e32 v81, v62, v83
	s_wait_loadcnt_dscnt 0x201
	v_dual_mul_f32 v103, v65, v85 :: v_dual_mul_f32 v106, v71, v91
	s_wait_loadcnt_dscnt 0x0
	v_dual_mul_f32 v83, v64, v85 :: v_dual_mul_f32 v108, v75, v95
	v_mul_f32_e32 v85, v66, v87
	v_mul_f32_e32 v105, v69, v89
	;; [unrolled: 1-line block ×7, first 2 shown]
	v_fma_f32 v95, v56, v76, -v99
	v_fmac_f32_e32 v96, v57, v76
	v_fma_f32 v76, v58, v78, -v100
	v_fmac_f32_e32 v77, v59, v78
	;; [unrolled: 2-line block ×10, first 2 shown]
	ds_store_2addr_b64 v50, v[95:96], v[76:77] offset0:54 offset1:108
	ds_store_2addr_b64 v50, v[78:79], v[80:81] offset0:162 offset1:216
	;; [unrolled: 1-line block ×5, first 2 shown]
.LBB0_9:
	s_wait_alu 0xfffe
	s_or_b32 exec_lo, exec_lo, s4
	global_wb scope:SCOPE_SE
	s_wait_dscnt 0x0
	s_barrier_signal -1
	s_barrier_wait -1
	global_inv scope:SCOPE_SE
	s_and_saveexec_b32 s4, vcc_lo
	s_cbranch_execz .LBB0_11
; %bb.10:
	v_add_nc_u32_e32 v0, 0x400, v51
	v_add_nc_u32_e32 v1, 0x800, v51
	ds_load_2addr_b64 v[32:35], v51 offset1:54
	ds_load_2addr_b64 v[40:43], v51 offset0:108 offset1:162
	ds_load_2addr_b64 v[36:39], v0 offset0:88 offset1:142
	;; [unrolled: 1-line block ×4, first 2 shown]
	ds_load_b64 v[45:46], v51 offset:4320
.LBB0_11:
	s_wait_alu 0xfffe
	s_or_b32 exec_lo, exec_lo, s4
	global_wb scope:SCOPE_SE
	s_wait_dscnt 0x0
	s_barrier_signal -1
	s_barrier_wait -1
	global_inv scope:SCOPE_SE
	s_and_saveexec_b32 s4, vcc_lo
	s_cbranch_execz .LBB0_13
; %bb.12:
	v_dual_add_f32 v62, v46, v35 :: v_dual_add_f32 v65, v3, v41
	v_dual_sub_f32 v64, v34, v45 :: v_dual_add_f32 v67, v1, v43
	v_dual_sub_f32 v66, v40, v2 :: v_dual_sub_f32 v69, v42, v0
	s_delay_alu instid0(VALU_DEP_3) | instskip(NEXT) | instid1(VALU_DEP_4)
	v_dual_mul_f32 v68, 0xbf75a155, v62 :: v_dual_add_f32 v73, v5, v39
	v_dual_mul_f32 v72, 0x3f575c64, v65 :: v_dual_sub_f32 v79, v41, v3
	v_dual_add_f32 v70, v7, v37 :: v_dual_sub_f32 v71, v36, v6
	s_delay_alu instid0(VALU_DEP_3) | instskip(SKIP_1) | instid1(VALU_DEP_2)
	v_dual_fmamk_f32 v56, v64, 0x3e903f40, v68 :: v_dual_sub_f32 v83, v43, v1
	v_dual_sub_f32 v74, v35, v46 :: v_dual_mul_f32 v75, 0xbf27a4f4, v67
	v_dual_fmamk_f32 v57, v66, 0xbf0a6770, v72 :: v_dual_add_f32 v56, v33, v56
	s_delay_alu instid0(VALU_DEP_4) | instskip(NEXT) | instid1(VALU_DEP_3)
	v_mul_f32_e32 v77, 0x3ed4b147, v70
	v_dual_add_f32 v85, v0, v42 :: v_dual_fmamk_f32 v58, v69, 0x3f4178ce, v75
	s_delay_alu instid0(VALU_DEP_3) | instskip(NEXT) | instid1(VALU_DEP_3)
	v_dual_mul_f32 v99, 0x3f7d64f0, v79 :: v_dual_add_f32 v56, v57, v56
	v_dual_add_f32 v76, v45, v34 :: v_dual_fmamk_f32 v57, v71, 0xbf68dda4, v77
	v_mul_f32_e32 v81, 0x3f0a6770, v79
	v_mul_f32_e32 v82, 0xbe11bafb, v73
	s_delay_alu instid0(VALU_DEP_4) | instskip(SKIP_3) | instid1(VALU_DEP_3)
	v_add_f32_e32 v56, v58, v56
	v_sub_f32_e32 v84, v38, v4
	v_dual_mul_f32 v86, 0xbf4178ce, v83 :: v_dual_mul_f32 v97, 0xbf4178ce, v74
	v_dual_mul_f32 v87, 0xbf27a4f4, v62 :: v_dual_sub_f32 v88, v37, v7
	v_dual_add_f32 v56, v57, v56 :: v_dual_fmamk_f32 v57, v84, 0x3f7d64f0, v82
	v_mul_f32_e32 v78, 0xbe903f40, v74
	v_dual_add_f32 v90, v6, v36 :: v_dual_mul_f32 v93, 0x3f575c64, v67
	v_dual_mul_f32 v110, 0x3e903f40, v79 :: v_dual_add_f32 v35, v35, v33
	s_delay_alu instid0(VALU_DEP_4) | instskip(NEXT) | instid1(VALU_DEP_4)
	v_add_f32_e32 v57, v57, v56
	v_dual_add_f32 v80, v2, v40 :: v_dual_fmamk_f32 v59, v76, 0xbf75a155, v78
	v_mul_f32_e32 v102, 0xbf75a155, v65
	v_dual_add_f32 v94, v4, v38 :: v_dual_mul_f32 v89, 0xbe11bafb, v65
	v_sub_f32_e32 v92, v39, v5
	s_delay_alu instid0(VALU_DEP_4) | instskip(SKIP_3) | instid1(VALU_DEP_3)
	v_add_f32_e32 v58, v32, v59
	v_fmamk_f32 v59, v80, 0x3f575c64, v81
	v_mul_f32_e32 v103, 0xbe903f40, v88
	v_dual_mul_f32 v96, 0xbf75a155, v70 :: v_dual_fmamk_f32 v111, v80, 0xbf75a155, v110
	v_dual_fmamk_f32 v63, v66, 0xbe903f40, v102 :: v_dual_add_f32 v58, v59, v58
	v_fmamk_f32 v59, v85, 0xbf27a4f4, v86
	v_mul_f32_e32 v114, 0xbf0a6770, v88
	v_mul_f32_e32 v106, 0x3f575c64, v70
	v_dual_mul_f32 v91, 0x3f68dda4, v88 :: v_dual_mul_f32 v112, 0x3f68dda4, v83
	s_delay_alu instid0(VALU_DEP_4)
	v_add_f32_e32 v56, v59, v58
	v_fmamk_f32 v58, v64, 0x3f4178ce, v87
	v_fmamk_f32 v59, v66, 0xbf7d64f0, v89
	v_mul_f32_e32 v95, 0xbf7d64f0, v92
	v_mul_f32_e32 v105, 0x3f68dda4, v92
	;; [unrolled: 1-line block ×3, first 2 shown]
	v_add_f32_e32 v58, v33, v58
	v_fmamk_f32 v108, v71, 0x3f0a6770, v106
	v_mul_f32_e32 v100, 0xbe11bafb, v62
	v_mul_f32_e32 v104, 0x3ed4b147, v67
	s_delay_alu instid0(VALU_DEP_4) | instskip(SKIP_4) | instid1(VALU_DEP_4)
	v_dual_mul_f32 v123, 0x3e903f40, v83 :: v_dual_add_f32 v58, v59, v58
	v_fmamk_f32 v59, v69, 0x3f0a6770, v93
	v_mul_f32_e32 v116, 0xbf75a155, v67
	v_mul_f32_e32 v118, 0xbe11bafb, v70
	v_mul_f32_e32 v126, 0x3f0a6770, v92
	v_dual_mul_f32 v101, 0xbf0a6770, v83 :: v_dual_add_f32 v58, v59, v58
	v_fmamk_f32 v59, v71, 0x3e903f40, v96
	v_mul_f32_e32 v122, 0x3f575c64, v62
	v_mul_f32_e32 v117, 0xbf4178ce, v92
	;; [unrolled: 1-line block ×4, first 2 shown]
	v_dual_add_f32 v58, v59, v58 :: v_dual_fmamk_f32 v59, v84, 0xbf68dda4, v98
	v_fmamk_f32 v60, v90, 0x3ed4b147, v91
	v_fmamk_f32 v61, v80, 0xbe11bafb, v99
	v_dual_mul_f32 v70, 0xbf27a4f4, v70 :: v_dual_add_f32 v35, v41, v35
	s_delay_alu instid0(VALU_DEP_4) | instskip(NEXT) | instid1(VALU_DEP_4)
	v_dual_add_f32 v59, v59, v58 :: v_dual_fmamk_f32 v58, v64, 0x3f7d64f0, v100
	v_dual_add_f32 v56, v60, v56 :: v_dual_mul_f32 v109, 0xbf27a4f4, v73
	v_mul_f32_e32 v41, 0xbf0a6770, v74
	v_fmac_f32_e32 v68, 0xbe903f40, v64
	s_delay_alu instid0(VALU_DEP_4) | instskip(SKIP_3) | instid1(VALU_DEP_4)
	v_add_f32_e32 v58, v33, v58
	v_mul_f32_e32 v107, 0xbf7d64f0, v74
	v_fmac_f32_e32 v87, 0xbf4178ce, v64
	v_fmac_f32_e32 v102, 0x3e903f40, v66
	v_dual_mul_f32 v113, 0xbf27a4f4, v65 :: v_dual_add_f32 v58, v63, v58
	v_fmamk_f32 v63, v69, 0xbf68dda4, v104
	v_fmamk_f32 v60, v94, 0xbe11bafb, v95
	v_add_f32_e32 v34, v34, v32
	s_delay_alu instid0(VALU_DEP_4) | instskip(SKIP_1) | instid1(VALU_DEP_4)
	v_fmamk_f32 v115, v66, 0x3f4178ce, v113
	v_mul_f32_e32 v65, 0x3ed4b147, v65
	v_dual_add_f32 v63, v63, v58 :: v_dual_add_f32 v56, v60, v56
	s_delay_alu instid0(VALU_DEP_4) | instskip(SKIP_1) | instid1(VALU_DEP_4)
	v_add_f32_e32 v34, v40, v34
	v_fmamk_f32 v60, v76, 0xbf27a4f4, v97
	v_fmamk_f32 v125, v66, 0x3f68dda4, v65
	v_mul_f32_e32 v120, 0x3f575c64, v73
	v_fmac_f32_e32 v113, 0xbf4178ce, v66
	s_delay_alu instid0(VALU_DEP_4)
	v_dual_fmac_f32 v65, 0xbf68dda4, v66 :: v_dual_add_f32 v60, v32, v60
	v_add_f32_e32 v34, v42, v34
	v_mul_f32_e32 v42, 0xbf7d64f0, v83
	v_fmac_f32_e32 v72, 0x3f0a6770, v66
	v_fmac_f32_e32 v82, 0xbf7d64f0, v84
	v_add_f32_e32 v60, v61, v60
	v_dual_fmamk_f32 v61, v85, 0x3f575c64, v101 :: v_dual_add_f32 v34, v36, v34
	s_delay_alu instid0(VALU_DEP_1) | instskip(SKIP_1) | instid1(VALU_DEP_3)
	v_dual_fmac_f32 v93, 0xbf0a6770, v69 :: v_dual_add_f32 v60, v61, v60
	v_fmamk_f32 v61, v90, 0xbf75a155, v103
	v_add_f32_e32 v34, v38, v34
	v_mul_f32_e32 v38, 0xbe903f40, v92
	v_mul_f32_e32 v73, 0xbf75a155, v73
	v_fmac_f32_e32 v96, 0xbe903f40, v71
	v_dual_add_f32 v60, v61, v60 :: v_dual_fmamk_f32 v61, v94, 0x3ed4b147, v105
	v_add_f32_e32 v4, v4, v34
	s_delay_alu instid0(VALU_DEP_4) | instskip(SKIP_1) | instid1(VALU_DEP_4)
	v_fmamk_f32 v36, v84, 0x3e903f40, v73
	v_fmac_f32_e32 v98, 0x3f68dda4, v84
	v_dual_add_f32 v58, v61, v60 :: v_dual_add_f32 v61, v108, v63
	v_fmamk_f32 v63, v84, 0x3f4178ce, v109
	v_mul_f32_e32 v108, 0x3ed4b147, v62
	v_dual_add_f32 v4, v6, v4 :: v_dual_add_f32 v35, v43, v35
	s_delay_alu instid0(VALU_DEP_3) | instskip(NEXT) | instid1(VALU_DEP_3)
	v_dual_fmamk_f32 v40, v76, 0x3f575c64, v41 :: v_dual_add_f32 v61, v63, v61
	v_fmamk_f32 v63, v64, 0x3f68dda4, v108
	v_dual_mul_f32 v43, 0xbf68dda4, v79 :: v_dual_add_f32 v6, v33, v68
	s_delay_alu instid0(VALU_DEP_4) | instskip(NEXT) | instid1(VALU_DEP_4)
	v_add_f32_e32 v35, v37, v35
	v_add_f32_e32 v37, v32, v40
	s_delay_alu instid0(VALU_DEP_4) | instskip(NEXT) | instid1(VALU_DEP_3)
	v_dual_add_f32 v63, v33, v63 :: v_dual_fmamk_f32 v60, v76, 0xbe11bafb, v107
	v_dual_fmamk_f32 v40, v80, 0x3ed4b147, v43 :: v_dual_add_f32 v35, v39, v35
	v_dual_fmamk_f32 v39, v85, 0xbe11bafb, v42 :: v_dual_add_f32 v0, v0, v4
	s_delay_alu instid0(VALU_DEP_3) | instskip(SKIP_1) | instid1(VALU_DEP_4)
	v_dual_add_f32 v63, v115, v63 :: v_dual_add_f32 v60, v32, v60
	v_fmamk_f32 v115, v69, 0xbe903f40, v116
	v_add_f32_e32 v37, v40, v37
	s_delay_alu instid0(VALU_DEP_4) | instskip(NEXT) | instid1(VALU_DEP_4)
	v_dual_add_f32 v35, v5, v35 :: v_dual_add_f32 v0, v2, v0
	v_add_f32_e32 v60, v111, v60
	s_delay_alu instid0(VALU_DEP_4)
	v_add_f32_e32 v63, v115, v63
	v_fmamk_f32 v115, v71, 0xbf7d64f0, v118
	v_fmamk_f32 v111, v85, 0x3ed4b147, v112
	v_add_f32_e32 v0, v45, v0
	v_fmac_f32_e32 v100, 0xbf7d64f0, v64
	v_fma_f32 v40, 0xbf75a155, v80, -v110
	v_add_f32_e32 v63, v115, v63
	v_dual_fmamk_f32 v115, v84, 0xbf0a6770, v120 :: v_dual_add_f32 v60, v111, v60
	v_fmamk_f32 v111, v90, 0x3f575c64, v114
	v_fmac_f32_e32 v108, 0xbf68dda4, v64
	v_fmac_f32_e32 v106, 0xbf0a6770, v71
	s_delay_alu instid0(VALU_DEP_4) | instskip(NEXT) | instid1(VALU_DEP_4)
	v_add_f32_e32 v63, v115, v63
	v_dual_fmamk_f32 v115, v64, 0x3f0a6770, v122 :: v_dual_add_f32 v60, v111, v60
	v_fmamk_f32 v111, v94, 0xbf27a4f4, v117
	v_mul_f32_e32 v119, 0xbf68dda4, v74
	v_fmac_f32_e32 v118, 0x3f7d64f0, v71
	s_delay_alu instid0(VALU_DEP_4) | instskip(SKIP_1) | instid1(VALU_DEP_2)
	v_add_f32_e32 v115, v33, v115
	v_fmac_f32_e32 v109, 0xbf4178ce, v84
	v_dual_add_f32 v60, v111, v60 :: v_dual_add_f32 v115, v125, v115
	v_fmamk_f32 v125, v69, 0x3f7d64f0, v67
	v_fmac_f32_e32 v67, 0xbf7d64f0, v69
	s_delay_alu instid0(VALU_DEP_2) | instskip(SKIP_3) | instid1(VALU_DEP_3)
	v_add_f32_e32 v115, v125, v115
	v_fmamk_f32 v125, v71, 0x3f4178ce, v70
	v_fmamk_f32 v111, v76, 0x3ed4b147, v119
	v_fmac_f32_e32 v70, 0xbf4178ce, v71
	v_add_f32_e32 v74, v125, v115
	s_delay_alu instid0(VALU_DEP_3) | instskip(SKIP_1) | instid1(VALU_DEP_3)
	v_add_f32_e32 v62, v32, v111
	v_mul_f32_e32 v121, 0xbf4178ce, v79
	v_dual_add_f32 v5, v36, v74 :: v_dual_mul_f32 v36, 0xbf4178ce, v88
	s_delay_alu instid0(VALU_DEP_2) | instskip(NEXT) | instid1(VALU_DEP_2)
	v_fmamk_f32 v111, v80, 0xbf27a4f4, v121
	v_dual_add_f32 v37, v39, v37 :: v_dual_fmamk_f32 v34, v90, 0xbf27a4f4, v36
	s_delay_alu instid0(VALU_DEP_2) | instskip(SKIP_3) | instid1(VALU_DEP_4)
	v_dual_add_f32 v62, v111, v62 :: v_dual_fmamk_f32 v111, v85, 0xbf75a155, v123
	v_add_f32_e32 v7, v7, v35
	v_fma_f32 v35, 0xbe11bafb, v80, -v99
	v_fma_f32 v36, 0xbf27a4f4, v90, -v36
	v_dual_add_f32 v62, v111, v62 :: v_dual_fmamk_f32 v111, v90, 0xbe11bafb, v124
	s_delay_alu instid0(VALU_DEP_4)
	v_add_f32_e32 v1, v1, v7
	v_add_f32_e32 v7, v34, v37
	v_fmamk_f32 v34, v94, 0xbf75a155, v38
	v_fma_f32 v37, 0x3f575c64, v85, -v101
	v_add_f32_e32 v62, v111, v62
	v_add_f32_e32 v1, v3, v1
	s_delay_alu instid0(VALU_DEP_4)
	v_dual_add_f32 v3, v72, v6 :: v_dual_add_f32 v4, v34, v7
	v_fma_f32 v6, 0xbf75a155, v76, -v78
	v_fma_f32 v7, 0xbf27a4f4, v85, -v86
	v_fmac_f32_e32 v77, 0x3f68dda4, v71
	v_fmac_f32_e32 v75, 0xbf4178ce, v69
	v_dual_add_f32 v1, v46, v1 :: v_dual_add_f32 v34, v33, v87
	v_fmamk_f32 v111, v94, 0x3f575c64, v126
	v_fmac_f32_e32 v122, 0xbf0a6770, v64
	s_delay_alu instid0(VALU_DEP_4)
	v_dual_add_f32 v2, v75, v3 :: v_dual_add_f32 v3, v32, v6
	v_fma_f32 v6, 0x3f575c64, v80, -v81
	v_fmac_f32_e32 v116, 0x3e903f40, v69
	v_fma_f32 v46, 0xbf27a4f4, v80, -v121
	v_fma_f32 v38, 0xbf75a155, v94, -v38
	v_add_f32_e32 v62, v111, v62
	v_dual_add_f32 v6, v6, v3 :: v_dual_fmac_f32 v73, 0xbe903f40, v84
	s_delay_alu instid0(VALU_DEP_1) | instskip(SKIP_2) | instid1(VALU_DEP_2)
	v_add_f32_e32 v6, v7, v6
	v_add_f32_e32 v2, v77, v2
	v_fma_f32 v7, 0x3ed4b147, v90, -v91
	v_add_f32_e32 v3, v82, v2
	v_fma_f32 v2, 0xbf27a4f4, v76, -v97
	s_delay_alu instid0(VALU_DEP_3) | instskip(SKIP_1) | instid1(VALU_DEP_3)
	v_add_f32_e32 v6, v7, v6
	v_fma_f32 v7, 0xbe11bafb, v94, -v95
	v_add_f32_e32 v2, v32, v2
	s_delay_alu instid0(VALU_DEP_1) | instskip(SKIP_1) | instid1(VALU_DEP_4)
	v_add_f32_e32 v35, v35, v2
	v_fmac_f32_e32 v89, 0x3f7d64f0, v66
	v_add_f32_e32 v2, v7, v6
	s_delay_alu instid0(VALU_DEP_2) | instskip(NEXT) | instid1(VALU_DEP_1)
	v_add_f32_e32 v34, v89, v34
	v_add_f32_e32 v34, v93, v34
	s_delay_alu instid0(VALU_DEP_1) | instskip(SKIP_2) | instid1(VALU_DEP_3)
	v_add_f32_e32 v6, v96, v34
	v_add_f32_e32 v34, v37, v35
	v_fma_f32 v35, 0xbf75a155, v90, -v103
	v_add_f32_e32 v7, v98, v6
	v_add_f32_e32 v37, v33, v100
	v_fma_f32 v6, 0xbe11bafb, v76, -v107
	s_delay_alu instid0(VALU_DEP_4) | instskip(SKIP_4) | instid1(VALU_DEP_4)
	v_add_f32_e32 v34, v35, v34
	v_fma_f32 v35, 0x3ed4b147, v94, -v105
	v_fmac_f32_e32 v104, 0x3f68dda4, v69
	v_add_f32_e32 v37, v102, v37
	v_add_f32_e32 v39, v32, v6
	;; [unrolled: 1-line block ×3, first 2 shown]
	s_delay_alu instid0(VALU_DEP_3) | instskip(NEXT) | instid1(VALU_DEP_3)
	v_add_f32_e32 v34, v104, v37
	v_add_f32_e32 v35, v40, v39
	v_fma_f32 v37, 0x3ed4b147, v85, -v112
	v_fma_f32 v40, 0x3f575c64, v90, -v114
	s_delay_alu instid0(VALU_DEP_2) | instskip(NEXT) | instid1(VALU_DEP_1)
	v_dual_add_f32 v34, v106, v34 :: v_dual_add_f32 v37, v37, v35
	v_add_f32_e32 v35, v109, v34
	v_add_f32_e32 v39, v33, v108
	v_fma_f32 v34, 0x3ed4b147, v76, -v119
	s_delay_alu instid0(VALU_DEP_4) | instskip(SKIP_2) | instid1(VALU_DEP_4)
	v_add_f32_e32 v37, v40, v37
	v_fma_f32 v40, 0xbf27a4f4, v94, -v117
	v_add_f32_e32 v33, v33, v122
	v_add_f32_e32 v45, v32, v34
	s_delay_alu instid0(VALU_DEP_3) | instskip(NEXT) | instid1(VALU_DEP_3)
	v_dual_add_f32 v34, v40, v37 :: v_dual_add_f32 v39, v113, v39
	v_add_f32_e32 v33, v65, v33
	s_delay_alu instid0(VALU_DEP_2) | instskip(NEXT) | instid1(VALU_DEP_1)
	v_dual_add_f32 v40, v46, v45 :: v_dual_add_f32 v39, v116, v39
	v_add_f32_e32 v37, v118, v39
	v_fma_f32 v39, 0x3f575c64, v76, -v41
	v_fma_f32 v41, 0xbf75a155, v85, -v123
	s_delay_alu instid0(VALU_DEP_2) | instskip(SKIP_1) | instid1(VALU_DEP_3)
	v_add_f32_e32 v32, v32, v39
	v_fma_f32 v39, 0x3ed4b147, v80, -v43
	v_add_f32_e32 v40, v41, v40
	v_fma_f32 v41, 0xbe11bafb, v90, -v124
	s_delay_alu instid0(VALU_DEP_3) | instskip(SKIP_2) | instid1(VALU_DEP_2)
	v_add_f32_e32 v32, v39, v32
	v_fma_f32 v39, 0xbe11bafb, v85, -v42
	v_add_f32_e32 v33, v67, v33
	v_add_f32_e32 v32, v39, v32
	s_delay_alu instid0(VALU_DEP_2)
	v_add_f32_e32 v42, v70, v33
	v_fmac_f32_e32 v120, 0x3f0a6770, v84
	v_add_f32_e32 v40, v41, v40
	v_and_b32_e32 v41, 0xffff, v52
	v_fma_f32 v39, 0x3f575c64, v94, -v126
	v_add_f32_e32 v36, v36, v32
	v_add_f32_e32 v33, v120, v37
	;; [unrolled: 1-line block ×3, first 2 shown]
	s_delay_alu instid0(VALU_DEP_4) | instskip(NEXT) | instid1(VALU_DEP_4)
	v_dual_add_f32 v32, v39, v40 :: v_dual_lshlrev_b32 v41, 3, v41
	v_add_f32_e32 v36, v38, v36
	ds_store_2addr_b64 v41, v[0:1], v[4:5] offset1:1
	ds_store_2addr_b64 v41, v[62:63], v[60:61] offset0:2 offset1:3
	ds_store_2addr_b64 v41, v[58:59], v[56:57] offset0:4 offset1:5
	;; [unrolled: 1-line block ×4, first 2 shown]
	ds_store_b64 v41, v[36:37] offset:80
.LBB0_13:
	s_wait_alu 0xfffe
	s_or_b32 exec_lo, exec_lo, s4
	v_add_nc_u32_e32 v36, 0x400, v51
	v_add_nc_u32_e32 v37, 0x800, v51
	global_wb scope:SCOPE_SE
	s_wait_dscnt 0x0
	s_barrier_signal -1
	s_barrier_wait -1
	global_inv scope:SCOPE_SE
	ds_load_2addr_b64 v[0:3], v36 offset0:70 offset1:169
	ds_load_2addr_b64 v[4:7], v37 offset0:140 offset1:239
	ds_load_2addr_b64 v[32:35], v51 offset1:99
	global_wb scope:SCOPE_SE
	s_wait_dscnt 0x0
	s_barrier_signal -1
	s_barrier_wait -1
	global_inv scope:SCOPE_SE
	v_mul_f32_e32 v38, v13, v1
	v_mul_f32_e32 v13, v13, v0
	v_dual_mul_f32 v39, v15, v5 :: v_dual_mul_f32 v40, v9, v3
	v_mul_f32_e32 v15, v15, v4
	s_delay_alu instid0(VALU_DEP_4) | instskip(NEXT) | instid1(VALU_DEP_4)
	v_dual_mul_f32 v9, v9, v2 :: v_dual_fmac_f32 v38, v12, v0
	v_fma_f32 v0, v12, v1, -v13
	s_delay_alu instid0(VALU_DEP_4) | instskip(NEXT) | instid1(VALU_DEP_4)
	v_fmac_f32_e32 v40, v8, v2
	v_fma_f32 v1, v14, v5, -v15
	v_mul_f32_e32 v41, v11, v7
	v_fmac_f32_e32 v39, v14, v4
	v_fma_f32 v2, v8, v3, -v9
	v_add_f32_e32 v3, v32, v38
	v_dual_add_f32 v8, v0, v1 :: v_dual_mul_f32 v11, v11, v6
	s_delay_alu instid0(VALU_DEP_4) | instskip(SKIP_1) | instid1(VALU_DEP_3)
	v_add_f32_e32 v4, v38, v39
	v_dual_fmac_f32 v41, v10, v6 :: v_dual_add_f32 v6, v33, v0
	v_fma_f32 v7, v10, v7, -v11
	v_dual_sub_f32 v5, v0, v1 :: v_dual_add_f32 v10, v34, v40
	s_delay_alu instid0(VALU_DEP_3) | instskip(NEXT) | instid1(VALU_DEP_3)
	v_dual_add_f32 v0, v3, v39 :: v_dual_add_f32 v11, v40, v41
	v_add_f32_e32 v14, v2, v7
	v_dual_sub_f32 v12, v2, v7 :: v_dual_add_f32 v13, v35, v2
	v_fma_f32 v2, -0.5, v4, v32
	v_sub_f32_e32 v9, v38, v39
	v_fma_f32 v3, -0.5, v8, v33
	v_fma_f32 v34, -0.5, v11, v34
	v_fmac_f32_e32 v35, -0.5, v14
	v_sub_f32_e32 v11, v40, v41
	v_dual_add_f32 v1, v6, v1 :: v_dual_fmamk_f32 v4, v5, 0xbf5db3d7, v2
	s_delay_alu instid0(VALU_DEP_4)
	v_fmamk_f32 v8, v12, 0xbf5db3d7, v34
	v_dual_fmac_f32 v2, 0x3f5db3d7, v5 :: v_dual_fmamk_f32 v5, v9, 0x3f5db3d7, v3
	v_fmac_f32_e32 v34, 0x3f5db3d7, v12
	v_fmac_f32_e32 v3, 0xbf5db3d7, v9
	v_dual_add_f32 v6, v10, v41 :: v_dual_add_f32 v7, v13, v7
	v_fmamk_f32 v9, v11, 0x3f5db3d7, v35
	v_fmac_f32_e32 v35, 0xbf5db3d7, v11
	ds_store_2addr_b64 v54, v[0:1], v[4:5] offset1:11
	ds_store_b64 v54, v[2:3] offset:176
	ds_store_2addr_b64 v53, v[6:7], v[8:9] offset1:11
	ds_store_b64 v53, v[34:35] offset:176
	global_wb scope:SCOPE_SE
	s_wait_dscnt 0x0
	s_barrier_signal -1
	s_barrier_wait -1
	global_inv scope:SCOPE_SE
	ds_load_2addr_b64 v[0:3], v51 offset1:99
	ds_load_2addr_b64 v[4:7], v36 offset0:70 offset1:169
	ds_load_2addr_b64 v[8:11], v37 offset0:140 offset1:239
	global_wb scope:SCOPE_SE
	s_wait_dscnt 0x0
	s_barrier_signal -1
	s_barrier_wait -1
	global_inv scope:SCOPE_SE
	v_mul_f32_e32 v12, v21, v3
	v_dual_mul_f32 v14, v23, v5 :: v_dual_mul_f32 v13, v21, v2
	s_delay_alu instid0(VALU_DEP_2) | instskip(NEXT) | instid1(VALU_DEP_2)
	v_dual_mul_f32 v21, v17, v7 :: v_dual_fmac_f32 v12, v20, v2
	v_fmac_f32_e32 v14, v22, v4
	v_mul_f32_e32 v15, v23, v4
	s_delay_alu instid0(VALU_DEP_4) | instskip(NEXT) | instid1(VALU_DEP_2)
	v_fma_f32 v2, v20, v3, -v13
	v_fma_f32 v4, v22, v5, -v15
	v_mul_f32_e32 v5, v17, v6
	v_dual_fmac_f32 v21, v16, v6 :: v_dual_mul_f32 v6, v19, v8
	s_delay_alu instid0(VALU_DEP_2) | instskip(SKIP_1) | instid1(VALU_DEP_3)
	v_fma_f32 v5, v16, v7, -v5
	v_mul_f32_e32 v7, v48, v10
	v_fma_f32 v6, v18, v9, -v6
	v_mul_f32_e32 v3, v19, v9
	s_delay_alu instid0(VALU_DEP_3) | instskip(NEXT) | instid1(VALU_DEP_2)
	v_fma_f32 v7, v47, v11, -v7
	v_dual_fmac_f32 v3, v18, v8 :: v_dual_mul_f32 v8, v48, v11
	s_delay_alu instid0(VALU_DEP_1) | instskip(SKIP_1) | instid1(VALU_DEP_2)
	v_dual_add_f32 v9, v14, v3 :: v_dual_fmac_f32 v8, v47, v10
	v_add_f32_e32 v10, v0, v14
	v_fma_f32 v9, -0.5, v9, v0
	v_sub_f32_e32 v0, v4, v6
	s_delay_alu instid0(VALU_DEP_1) | instskip(SKIP_3) | instid1(VALU_DEP_2)
	v_fmamk_f32 v13, v0, 0xbf5db3d7, v9
	v_dual_fmac_f32 v9, 0x3f5db3d7, v0 :: v_dual_add_f32 v0, v5, v7
	v_dual_add_f32 v11, v4, v6 :: v_dual_add_f32 v4, v1, v4
	v_add_f32_e32 v10, v10, v3
	v_fma_f32 v11, -0.5, v11, v1
	s_delay_alu instid0(VALU_DEP_3) | instskip(SKIP_3) | instid1(VALU_DEP_4)
	v_dual_sub_f32 v1, v14, v3 :: v_dual_add_f32 v14, v4, v6
	v_add_f32_e32 v4, v2, v5
	v_fmac_f32_e32 v2, -0.5, v0
	v_sub_f32_e32 v0, v21, v8
	v_dual_add_f32 v6, v12, v21 :: v_dual_fmamk_f32 v15, v1, 0x3f5db3d7, v11
	v_fmac_f32_e32 v11, 0xbf5db3d7, v1
	s_delay_alu instid0(VALU_DEP_3) | instskip(SKIP_3) | instid1(VALU_DEP_4)
	v_fmamk_f32 v1, v0, 0x3f5db3d7, v2
	v_add_f32_e32 v3, v21, v8
	v_fmac_f32_e32 v2, 0xbf5db3d7, v0
	v_add_f32_e32 v6, v6, v8
	v_mul_f32_e32 v8, 0xbf5db3d7, v1
	s_delay_alu instid0(VALU_DEP_4) | instskip(NEXT) | instid1(VALU_DEP_4)
	v_fmac_f32_e32 v12, -0.5, v3
	v_dual_sub_f32 v3, v5, v7 :: v_dual_mul_f32 v16, 0xbf5db3d7, v2
	v_dual_mul_f32 v18, -0.5, v2 :: v_dual_mul_f32 v17, 0.5, v1
	s_delay_alu instid0(VALU_DEP_2) | instskip(SKIP_1) | instid1(VALU_DEP_2)
	v_dual_add_f32 v0, v10, v6 :: v_dual_fmamk_f32 v5, v3, 0xbf5db3d7, v12
	v_fmac_f32_e32 v12, 0x3f5db3d7, v3
	v_dual_add_f32 v7, v4, v7 :: v_dual_fmac_f32 v8, 0.5, v5
	s_delay_alu instid0(VALU_DEP_2) | instskip(NEXT) | instid1(VALU_DEP_2)
	v_dual_fmac_f32 v16, -0.5, v12 :: v_dual_fmac_f32 v17, 0x3f5db3d7, v5
	v_dual_fmac_f32 v18, 0x3f5db3d7, v12 :: v_dual_add_f32 v1, v14, v7
	s_delay_alu instid0(VALU_DEP_3) | instskip(NEXT) | instid1(VALU_DEP_3)
	v_add_f32_e32 v2, v13, v8
	v_dual_add_f32 v4, v9, v16 :: v_dual_add_f32 v3, v15, v17
	s_delay_alu instid0(VALU_DEP_3)
	v_add_f32_e32 v5, v11, v18
	v_sub_f32_e32 v6, v10, v6
	v_dual_sub_f32 v8, v13, v8 :: v_dual_sub_f32 v7, v14, v7
	v_dual_sub_f32 v10, v9, v16 :: v_dual_sub_f32 v11, v11, v18
	v_sub_f32_e32 v9, v15, v17
	ds_store_2addr_b64 v55, v[0:1], v[2:3] offset1:33
	ds_store_2addr_b64 v55, v[4:5], v[6:7] offset0:66 offset1:99
	ds_store_2addr_b64 v55, v[8:9], v[10:11] offset0:132 offset1:165
	global_wb scope:SCOPE_SE
	s_wait_dscnt 0x0
	s_barrier_signal -1
	s_barrier_wait -1
	global_inv scope:SCOPE_SE
	ds_load_2addr_b64 v[0:3], v36 offset0:70 offset1:169
	ds_load_2addr_b64 v[4:7], v37 offset0:140 offset1:239
	ds_load_2addr_b64 v[8:11], v51 offset1:99
	s_wait_dscnt 0x1
	v_dual_mul_f32 v12, v29, v1 :: v_dual_mul_f32 v15, v27, v7
	v_dual_mul_f32 v13, v29, v0 :: v_dual_mul_f32 v14, v31, v5
	s_delay_alu instid0(VALU_DEP_2) | instskip(NEXT) | instid1(VALU_DEP_2)
	v_fmac_f32_e32 v12, v28, v0
	v_fma_f32 v1, v28, v1, -v13
	v_dual_mul_f32 v13, v25, v3 :: v_dual_mul_f32 v0, v31, v4
	s_delay_alu instid0(VALU_DEP_4) | instskip(SKIP_1) | instid1(VALU_DEP_3)
	v_fmac_f32_e32 v14, v30, v4
	v_mul_f32_e32 v4, v25, v2
	v_fmac_f32_e32 v13, v24, v2
	s_delay_alu instid0(VALU_DEP_4) | instskip(SKIP_1) | instid1(VALU_DEP_4)
	v_fma_f32 v5, v30, v5, -v0
	v_mul_f32_e32 v0, v27, v6
	v_fma_f32 v16, v24, v3, -v4
	v_add_f32_e32 v2, v12, v14
	s_delay_alu instid0(VALU_DEP_4) | instskip(SKIP_4) | instid1(VALU_DEP_3)
	v_dual_fmac_f32 v15, v26, v6 :: v_dual_add_f32 v4, v1, v5
	s_wait_dscnt 0x0
	v_add_f32_e32 v3, v8, v12
	v_fma_f32 v7, v26, v7, -v0
	v_fma_f32 v0, -0.5, v2, v8
	v_dual_add_f32 v2, v3, v14 :: v_dual_add_f32 v3, v9, v1
	v_sub_f32_e32 v8, v12, v14
	v_sub_f32_e32 v6, v1, v5
	v_fma_f32 v1, -0.5, v4, v9
	v_add_f32_e32 v14, v11, v16
	v_add_f32_e32 v3, v3, v5
	v_dual_add_f32 v9, v10, v13 :: v_dual_sub_f32 v12, v16, v7
	s_delay_alu instid0(VALU_DEP_4) | instskip(SKIP_3) | instid1(VALU_DEP_3)
	v_fmamk_f32 v5, v8, 0x3f5db3d7, v1
	v_dual_fmac_f32 v1, 0xbf5db3d7, v8 :: v_dual_add_f32 v8, v16, v7
	v_fmamk_f32 v4, v6, 0xbf5db3d7, v0
	v_dual_fmac_f32 v0, 0x3f5db3d7, v6 :: v_dual_add_f32 v7, v14, v7
	v_dual_fmac_f32 v11, -0.5, v8 :: v_dual_add_f32 v6, v13, v15
	v_sub_f32_e32 v13, v13, v15
	s_delay_alu instid0(VALU_DEP_2) | instskip(SKIP_1) | instid1(VALU_DEP_3)
	v_fma_f32 v10, -0.5, v6, v10
	v_add_f32_e32 v6, v9, v15
	v_fmamk_f32 v9, v13, 0x3f5db3d7, v11
	s_delay_alu instid0(VALU_DEP_3)
	v_dual_fmac_f32 v11, 0xbf5db3d7, v13 :: v_dual_fmamk_f32 v8, v12, 0xbf5db3d7, v10
	v_fmac_f32_e32 v10, 0x3f5db3d7, v12
	ds_store_2addr_b64 v51, v[2:3], v[6:7] offset1:99
	ds_store_2addr_b64 v36, v[4:5], v[8:9] offset0:70 offset1:169
	ds_store_2addr_b64 v37, v[0:1], v[10:11] offset0:140 offset1:239
	global_wb scope:SCOPE_SE
	s_wait_dscnt 0x0
	s_barrier_signal -1
	s_barrier_wait -1
	global_inv scope:SCOPE_SE
	s_and_b32 exec_lo, exec_lo, vcc_lo
	s_cbranch_execz .LBB0_15
; %bb.14:
	s_clause 0xa
	global_load_b64 v[20:21], v50, s[12:13]
	global_load_b64 v[22:23], v50, s[12:13] offset:432
	global_load_b64 v[24:25], v50, s[12:13] offset:864
	;; [unrolled: 1-line block ×10, first 2 shown]
	v_mad_co_u64_u32 v[42:43], null, s2, v44, 0
	ds_load_b64 v[45:46], v51
	ds_load_2addr_b64 v[0:3], v50 offset0:54 offset1:108
	v_mad_co_u64_u32 v[47:48], null, s0, v49, 0
	v_add_nc_u32_e32 v13, 0x800, v50
	ds_load_2addr_b64 v[4:7], v50 offset0:162 offset1:216
	v_add_nc_u32_e32 v16, 0xc00, v50
	v_mov_b32_e32 v12, v43
	ds_load_2addr_b64 v[8:11], v13 offset0:14 offset1:68
	v_mad_co_u64_u32 v[43:44], null, s3, v44, v[12:13]
	v_mov_b32_e32 v44, v48
	s_mov_b32 s2, 0x2b18ff23
	s_mov_b32 s3, 0x3f5b951e
	s_wait_dscnt 0x3
	s_delay_alu instid0(VALU_DEP_1) | instskip(NEXT) | instid1(VALU_DEP_3)
	v_mad_co_u64_u32 v[48:49], null, s1, v49, v[44:45]
	v_lshlrev_b64_e32 v[42:43], 3, v[42:43]
	s_mul_u64 s[0:1], s[0:1], 0x1b0
	s_delay_alu instid0(VALU_DEP_1) | instskip(NEXT) | instid1(VALU_DEP_2)
	v_add_co_u32 v42, vcc_lo, s8, v42
	v_add_co_ci_u32_e32 v43, vcc_lo, s9, v43, vcc_lo
	s_wait_loadcnt 0xa
	v_mul_f32_e32 v44, v46, v21
	v_mul_f32_e32 v21, v45, v21
	ds_load_2addr_b64 v[12:15], v13 offset0:122 offset1:176
	ds_load_2addr_b64 v[16:19], v16 offset0:102 offset1:156
	s_wait_loadcnt_dscnt 0x904
	v_mul_f32_e32 v49, v1, v23
	s_wait_loadcnt 0x8
	v_dual_mul_f32 v23, v0, v23 :: v_dual_mul_f32 v50, v3, v25
	s_wait_loadcnt_dscnt 0x703
	v_mul_f32_e32 v51, v5, v27
	v_dual_mul_f32 v25, v2, v25 :: v_dual_fmac_f32 v44, v45, v20
	s_wait_loadcnt 0x6
	v_dual_mul_f32 v27, v4, v27 :: v_dual_mul_f32 v52, v7, v29
	v_mul_f32_e32 v29, v6, v29
	s_wait_loadcnt_dscnt 0x402
	v_dual_mul_f32 v53, v9, v31 :: v_dual_mul_f32 v54, v11, v33
	v_mul_f32_e32 v31, v8, v31
	v_fma_f32 v20, v20, v46, -v21
	v_mul_f32_e32 v33, v10, v33
	v_fma_f32 v21, v22, v1, -v23
	v_fma_f32 v23, v26, v5, -v27
	v_fmac_f32_e32 v50, v2, v24
	v_fmac_f32_e32 v52, v6, v28
	s_wait_loadcnt_dscnt 0x201
	v_dual_mul_f32 v56, v15, v37 :: v_dual_fmac_f32 v49, v0, v22
	s_wait_loadcnt_dscnt 0x0
	v_dual_mul_f32 v55, v13, v35 :: v_dual_mul_f32 v58, v19, v41
	v_mul_f32_e32 v35, v12, v35
	v_fma_f32 v22, v24, v3, -v25
	v_mul_f32_e32 v37, v14, v37
	s_delay_alu instid0(VALU_DEP_4)
	v_dual_fmac_f32 v51, v4, v26 :: v_dual_fmac_f32 v58, v18, v40
	v_mul_f32_e32 v57, v17, v39
	v_dual_mul_f32 v39, v16, v39 :: v_dual_fmac_f32 v54, v10, v32
	v_mul_f32_e32 v41, v18, v41
	v_fma_f32 v24, v28, v7, -v29
	v_fmac_f32_e32 v53, v8, v30
	v_fma_f32 v25, v30, v9, -v31
	v_cvt_f64_f32_e32 v[0:1], v44
	v_cvt_f64_f32_e32 v[2:3], v20
	v_fma_f32 v26, v32, v11, -v33
	v_fmac_f32_e32 v56, v14, v36
	v_cvt_f64_f32_e32 v[4:5], v49
	v_cvt_f64_f32_e32 v[6:7], v21
	v_fmac_f32_e32 v55, v12, v34
	v_fma_f32 v30, v34, v13, -v35
	v_cvt_f64_f32_e32 v[8:9], v50
	v_cvt_f64_f32_e32 v[10:11], v22
	v_fma_f32 v34, v36, v15, -v37
	v_cvt_f64_f32_e32 v[12:13], v51
	v_cvt_f64_f32_e32 v[14:15], v23
	v_fmac_f32_e32 v57, v16, v38
	v_fma_f32 v38, v38, v17, -v39
	v_fma_f32 v45, v40, v19, -v41
	v_cvt_f64_f32_e32 v[16:17], v52
	v_cvt_f64_f32_e32 v[18:19], v24
	;; [unrolled: 1-line block ×14, first 2 shown]
	v_lshlrev_b64_e32 v[46:47], 3, v[47:48]
	s_delay_alu instid0(VALU_DEP_1)
	v_add_co_u32 v42, vcc_lo, v42, v46
	s_wait_alu 0xfffe
	v_mul_f64_e32 v[0:1], s[2:3], v[0:1]
	v_mul_f64_e32 v[2:3], s[2:3], v[2:3]
	s_wait_alu 0xfffd
	v_add_co_ci_u32_e32 v43, vcc_lo, v43, v47, vcc_lo
	v_mul_f64_e32 v[4:5], s[2:3], v[4:5]
	v_mul_f64_e32 v[6:7], s[2:3], v[6:7]
	v_add_co_u32 v46, vcc_lo, v42, s0
	v_mul_f64_e32 v[8:9], s[2:3], v[8:9]
	v_mul_f64_e32 v[10:11], s[2:3], v[10:11]
	s_wait_alu 0xfffd
	v_add_co_ci_u32_e32 v47, vcc_lo, s1, v43, vcc_lo
	v_mul_f64_e32 v[12:13], s[2:3], v[12:13]
	v_mul_f64_e32 v[14:15], s[2:3], v[14:15]
	v_add_co_u32 v48, vcc_lo, v46, s0
	v_mul_f64_e32 v[16:17], s[2:3], v[16:17]
	v_mul_f64_e32 v[18:19], s[2:3], v[18:19]
	;; [unrolled: 1-line block ×14, first 2 shown]
	s_wait_alu 0xfffd
	v_add_co_ci_u32_e32 v49, vcc_lo, s1, v47, vcc_lo
	v_add_co_u32 v50, vcc_lo, v48, s0
	s_wait_alu 0xfffd
	s_delay_alu instid0(VALU_DEP_2) | instskip(NEXT) | instid1(VALU_DEP_2)
	v_add_co_ci_u32_e32 v51, vcc_lo, s1, v49, vcc_lo
	v_add_co_u32 v52, vcc_lo, v50, s0
	v_cvt_f32_f64_e32 v0, v[0:1]
	v_cvt_f32_f64_e32 v1, v[2:3]
	s_wait_alu 0xfffd
	v_add_co_ci_u32_e32 v53, vcc_lo, s1, v51, vcc_lo
	v_cvt_f32_f64_e32 v2, v[4:5]
	v_cvt_f32_f64_e32 v3, v[6:7]
	;; [unrolled: 1-line block ×20, first 2 shown]
	v_add_co_u32 v22, vcc_lo, v52, s0
	s_wait_alu 0xfffd
	v_add_co_ci_u32_e32 v23, vcc_lo, s1, v53, vcc_lo
	s_delay_alu instid0(VALU_DEP_2) | instskip(SKIP_1) | instid1(VALU_DEP_2)
	v_add_co_u32 v24, vcc_lo, v22, s0
	s_wait_alu 0xfffd
	v_add_co_ci_u32_e32 v25, vcc_lo, s1, v23, vcc_lo
	s_delay_alu instid0(VALU_DEP_2) | instskip(SKIP_1) | instid1(VALU_DEP_2)
	;; [unrolled: 4-line block ×5, first 2 shown]
	v_add_co_u32 v32, vcc_lo, v30, s0
	s_wait_alu 0xfffd
	v_add_co_ci_u32_e32 v33, vcc_lo, s1, v31, vcc_lo
	s_clause 0x4
	global_store_b64 v[42:43], v[0:1], off
	global_store_b64 v[46:47], v[2:3], off
	;; [unrolled: 1-line block ×11, first 2 shown]
.LBB0_15:
	s_nop 0
	s_sendmsg sendmsg(MSG_DEALLOC_VGPRS)
	s_endpgm
	.section	.rodata,"a",@progbits
	.p2align	6, 0x0
	.amdhsa_kernel bluestein_single_back_len594_dim1_sp_op_CI_CI
		.amdhsa_group_segment_fixed_size 4752
		.amdhsa_private_segment_fixed_size 0
		.amdhsa_kernarg_size 104
		.amdhsa_user_sgpr_count 2
		.amdhsa_user_sgpr_dispatch_ptr 0
		.amdhsa_user_sgpr_queue_ptr 0
		.amdhsa_user_sgpr_kernarg_segment_ptr 1
		.amdhsa_user_sgpr_dispatch_id 0
		.amdhsa_user_sgpr_private_segment_size 0
		.amdhsa_wavefront_size32 1
		.amdhsa_uses_dynamic_stack 0
		.amdhsa_enable_private_segment 0
		.amdhsa_system_sgpr_workgroup_id_x 1
		.amdhsa_system_sgpr_workgroup_id_y 0
		.amdhsa_system_sgpr_workgroup_id_z 0
		.amdhsa_system_sgpr_workgroup_info 0
		.amdhsa_system_vgpr_workitem_id 0
		.amdhsa_next_free_vgpr 127
		.amdhsa_next_free_sgpr 14
		.amdhsa_reserve_vcc 1
		.amdhsa_float_round_mode_32 0
		.amdhsa_float_round_mode_16_64 0
		.amdhsa_float_denorm_mode_32 3
		.amdhsa_float_denorm_mode_16_64 3
		.amdhsa_fp16_overflow 0
		.amdhsa_workgroup_processor_mode 1
		.amdhsa_memory_ordered 1
		.amdhsa_forward_progress 0
		.amdhsa_round_robin_scheduling 0
		.amdhsa_exception_fp_ieee_invalid_op 0
		.amdhsa_exception_fp_denorm_src 0
		.amdhsa_exception_fp_ieee_div_zero 0
		.amdhsa_exception_fp_ieee_overflow 0
		.amdhsa_exception_fp_ieee_underflow 0
		.amdhsa_exception_fp_ieee_inexact 0
		.amdhsa_exception_int_div_zero 0
	.end_amdhsa_kernel
	.text
.Lfunc_end0:
	.size	bluestein_single_back_len594_dim1_sp_op_CI_CI, .Lfunc_end0-bluestein_single_back_len594_dim1_sp_op_CI_CI
                                        ; -- End function
	.section	.AMDGPU.csdata,"",@progbits
; Kernel info:
; codeLenInByte = 10560
; NumSgprs: 16
; NumVgprs: 127
; ScratchSize: 0
; MemoryBound: 0
; FloatMode: 240
; IeeeMode: 1
; LDSByteSize: 4752 bytes/workgroup (compile time only)
; SGPRBlocks: 1
; VGPRBlocks: 15
; NumSGPRsForWavesPerEU: 16
; NumVGPRsForWavesPerEU: 127
; Occupancy: 10
; WaveLimiterHint : 1
; COMPUTE_PGM_RSRC2:SCRATCH_EN: 0
; COMPUTE_PGM_RSRC2:USER_SGPR: 2
; COMPUTE_PGM_RSRC2:TRAP_HANDLER: 0
; COMPUTE_PGM_RSRC2:TGID_X_EN: 1
; COMPUTE_PGM_RSRC2:TGID_Y_EN: 0
; COMPUTE_PGM_RSRC2:TGID_Z_EN: 0
; COMPUTE_PGM_RSRC2:TIDIG_COMP_CNT: 0
	.text
	.p2alignl 7, 3214868480
	.fill 96, 4, 3214868480
	.type	__hip_cuid_5f7f4b2d329bc4ef,@object ; @__hip_cuid_5f7f4b2d329bc4ef
	.section	.bss,"aw",@nobits
	.globl	__hip_cuid_5f7f4b2d329bc4ef
__hip_cuid_5f7f4b2d329bc4ef:
	.byte	0                               ; 0x0
	.size	__hip_cuid_5f7f4b2d329bc4ef, 1

	.ident	"AMD clang version 19.0.0git (https://github.com/RadeonOpenCompute/llvm-project roc-6.4.0 25133 c7fe45cf4b819c5991fe208aaa96edf142730f1d)"
	.section	".note.GNU-stack","",@progbits
	.addrsig
	.addrsig_sym __hip_cuid_5f7f4b2d329bc4ef
	.amdgpu_metadata
---
amdhsa.kernels:
  - .args:
      - .actual_access:  read_only
        .address_space:  global
        .offset:         0
        .size:           8
        .value_kind:     global_buffer
      - .actual_access:  read_only
        .address_space:  global
        .offset:         8
        .size:           8
        .value_kind:     global_buffer
      - .actual_access:  read_only
        .address_space:  global
        .offset:         16
        .size:           8
        .value_kind:     global_buffer
      - .actual_access:  read_only
        .address_space:  global
        .offset:         24
        .size:           8
        .value_kind:     global_buffer
      - .actual_access:  read_only
        .address_space:  global
        .offset:         32
        .size:           8
        .value_kind:     global_buffer
      - .offset:         40
        .size:           8
        .value_kind:     by_value
      - .address_space:  global
        .offset:         48
        .size:           8
        .value_kind:     global_buffer
      - .address_space:  global
        .offset:         56
        .size:           8
        .value_kind:     global_buffer
      - .address_space:  global
        .offset:         64
        .size:           8
        .value_kind:     global_buffer
      - .address_space:  global
        .offset:         72
        .size:           8
        .value_kind:     global_buffer
      - .offset:         80
        .size:           4
        .value_kind:     by_value
      - .address_space:  global
        .offset:         88
        .size:           8
        .value_kind:     global_buffer
      - .address_space:  global
        .offset:         96
        .size:           8
        .value_kind:     global_buffer
    .group_segment_fixed_size: 4752
    .kernarg_segment_align: 8
    .kernarg_segment_size: 104
    .language:       OpenCL C
    .language_version:
      - 2
      - 0
    .max_flat_workgroup_size: 99
    .name:           bluestein_single_back_len594_dim1_sp_op_CI_CI
    .private_segment_fixed_size: 0
    .sgpr_count:     16
    .sgpr_spill_count: 0
    .symbol:         bluestein_single_back_len594_dim1_sp_op_CI_CI.kd
    .uniform_work_group_size: 1
    .uses_dynamic_stack: false
    .vgpr_count:     127
    .vgpr_spill_count: 0
    .wavefront_size: 32
    .workgroup_processor_mode: 1
amdhsa.target:   amdgcn-amd-amdhsa--gfx1201
amdhsa.version:
  - 1
  - 2
...

	.end_amdgpu_metadata
